;; amdgpu-corpus repo=ROCm/rocFFT kind=compiled arch=gfx1201 opt=O3
	.text
	.amdgcn_target "amdgcn-amd-amdhsa--gfx1201"
	.amdhsa_code_object_version 6
	.protected	fft_rtc_fwd_len2700_factors_3_10_10_3_3_wgs_90_tpt_90_halfLds_dp_ip_CI_unitstride_sbrr_R2C_dirReg ; -- Begin function fft_rtc_fwd_len2700_factors_3_10_10_3_3_wgs_90_tpt_90_halfLds_dp_ip_CI_unitstride_sbrr_R2C_dirReg
	.globl	fft_rtc_fwd_len2700_factors_3_10_10_3_3_wgs_90_tpt_90_halfLds_dp_ip_CI_unitstride_sbrr_R2C_dirReg
	.p2align	8
	.type	fft_rtc_fwd_len2700_factors_3_10_10_3_3_wgs_90_tpt_90_halfLds_dp_ip_CI_unitstride_sbrr_R2C_dirReg,@function
fft_rtc_fwd_len2700_factors_3_10_10_3_3_wgs_90_tpt_90_halfLds_dp_ip_CI_unitstride_sbrr_R2C_dirReg: ; @fft_rtc_fwd_len2700_factors_3_10_10_3_3_wgs_90_tpt_90_halfLds_dp_ip_CI_unitstride_sbrr_R2C_dirReg
; %bb.0:
	s_clause 0x2
	s_load_b128 s[4:7], s[0:1], 0x0
	s_load_b64 s[8:9], s[0:1], 0x50
	s_load_b64 s[10:11], s[0:1], 0x18
	v_mul_u32_u24_e32 v1, 0x2d9, v0
	v_mov_b32_e32 v3, 0
	s_delay_alu instid0(VALU_DEP_2) | instskip(NEXT) | instid1(VALU_DEP_1)
	v_lshrrev_b32_e32 v1, 16, v1
	v_add_nc_u32_e32 v5, ttmp9, v1
	v_mov_b32_e32 v1, 0
	v_mov_b32_e32 v2, 0
	;; [unrolled: 1-line block ×3, first 2 shown]
	s_wait_kmcnt 0x0
	v_cmp_lt_u64_e64 s2, s[6:7], 2
	s_delay_alu instid0(VALU_DEP_1)
	s_and_b32 vcc_lo, exec_lo, s2
	s_cbranch_vccnz .LBB0_8
; %bb.1:
	s_load_b64 s[2:3], s[0:1], 0x10
	v_mov_b32_e32 v1, 0
	v_mov_b32_e32 v2, 0
	s_add_nc_u64 s[12:13], s[10:11], 8
	s_mov_b64 s[14:15], 1
	s_wait_kmcnt 0x0
	s_add_nc_u64 s[16:17], s[2:3], 8
	s_mov_b32 s3, 0
.LBB0_2:                                ; =>This Inner Loop Header: Depth=1
	s_load_b64 s[18:19], s[16:17], 0x0
                                        ; implicit-def: $vgpr7_vgpr8
	s_mov_b32 s2, exec_lo
	s_wait_kmcnt 0x0
	v_or_b32_e32 v4, s19, v6
	s_delay_alu instid0(VALU_DEP_1)
	v_cmpx_ne_u64_e32 0, v[3:4]
	s_wait_alu 0xfffe
	s_xor_b32 s20, exec_lo, s2
	s_cbranch_execz .LBB0_4
; %bb.3:                                ;   in Loop: Header=BB0_2 Depth=1
	s_cvt_f32_u32 s2, s18
	s_cvt_f32_u32 s21, s19
	s_sub_nc_u64 s[24:25], 0, s[18:19]
	s_wait_alu 0xfffe
	s_delay_alu instid0(SALU_CYCLE_1) | instskip(SKIP_1) | instid1(SALU_CYCLE_2)
	s_fmamk_f32 s2, s21, 0x4f800000, s2
	s_wait_alu 0xfffe
	v_s_rcp_f32 s2, s2
	s_delay_alu instid0(TRANS32_DEP_1) | instskip(SKIP_1) | instid1(SALU_CYCLE_2)
	s_mul_f32 s2, s2, 0x5f7ffffc
	s_wait_alu 0xfffe
	s_mul_f32 s21, s2, 0x2f800000
	s_wait_alu 0xfffe
	s_delay_alu instid0(SALU_CYCLE_2) | instskip(SKIP_1) | instid1(SALU_CYCLE_2)
	s_trunc_f32 s21, s21
	s_wait_alu 0xfffe
	s_fmamk_f32 s2, s21, 0xcf800000, s2
	s_cvt_u32_f32 s23, s21
	s_wait_alu 0xfffe
	s_delay_alu instid0(SALU_CYCLE_1) | instskip(SKIP_1) | instid1(SALU_CYCLE_2)
	s_cvt_u32_f32 s22, s2
	s_wait_alu 0xfffe
	s_mul_u64 s[26:27], s[24:25], s[22:23]
	s_wait_alu 0xfffe
	s_mul_hi_u32 s29, s22, s27
	s_mul_i32 s28, s22, s27
	s_mul_hi_u32 s2, s22, s26
	s_mul_i32 s30, s23, s26
	s_wait_alu 0xfffe
	s_add_nc_u64 s[28:29], s[2:3], s[28:29]
	s_mul_hi_u32 s21, s23, s26
	s_mul_hi_u32 s31, s23, s27
	s_add_co_u32 s2, s28, s30
	s_wait_alu 0xfffe
	s_add_co_ci_u32 s2, s29, s21
	s_mul_i32 s26, s23, s27
	s_add_co_ci_u32 s27, s31, 0
	s_wait_alu 0xfffe
	s_add_nc_u64 s[26:27], s[2:3], s[26:27]
	s_wait_alu 0xfffe
	v_add_co_u32 v4, s2, s22, s26
	s_delay_alu instid0(VALU_DEP_1) | instskip(SKIP_1) | instid1(VALU_DEP_1)
	s_cmp_lg_u32 s2, 0
	s_add_co_ci_u32 s23, s23, s27
	v_readfirstlane_b32 s22, v4
	s_wait_alu 0xfffe
	s_delay_alu instid0(VALU_DEP_1)
	s_mul_u64 s[24:25], s[24:25], s[22:23]
	s_wait_alu 0xfffe
	s_mul_hi_u32 s27, s22, s25
	s_mul_i32 s26, s22, s25
	s_mul_hi_u32 s2, s22, s24
	s_mul_i32 s28, s23, s24
	s_wait_alu 0xfffe
	s_add_nc_u64 s[26:27], s[2:3], s[26:27]
	s_mul_hi_u32 s21, s23, s24
	s_mul_hi_u32 s22, s23, s25
	s_wait_alu 0xfffe
	s_add_co_u32 s2, s26, s28
	s_add_co_ci_u32 s2, s27, s21
	s_mul_i32 s24, s23, s25
	s_add_co_ci_u32 s25, s22, 0
	s_wait_alu 0xfffe
	s_add_nc_u64 s[24:25], s[2:3], s[24:25]
	s_wait_alu 0xfffe
	v_add_co_u32 v4, s2, v4, s24
	s_delay_alu instid0(VALU_DEP_1) | instskip(SKIP_1) | instid1(VALU_DEP_1)
	s_cmp_lg_u32 s2, 0
	s_add_co_ci_u32 s2, s23, s25
	v_mul_hi_u32 v13, v5, v4
	s_wait_alu 0xfffe
	v_mad_co_u64_u32 v[7:8], null, v5, s2, 0
	v_mad_co_u64_u32 v[9:10], null, v6, v4, 0
	;; [unrolled: 1-line block ×3, first 2 shown]
	s_delay_alu instid0(VALU_DEP_3) | instskip(SKIP_1) | instid1(VALU_DEP_4)
	v_add_co_u32 v4, vcc_lo, v13, v7
	s_wait_alu 0xfffd
	v_add_co_ci_u32_e32 v7, vcc_lo, 0, v8, vcc_lo
	s_delay_alu instid0(VALU_DEP_2) | instskip(SKIP_1) | instid1(VALU_DEP_2)
	v_add_co_u32 v4, vcc_lo, v4, v9
	s_wait_alu 0xfffd
	v_add_co_ci_u32_e32 v4, vcc_lo, v7, v10, vcc_lo
	s_wait_alu 0xfffd
	v_add_co_ci_u32_e32 v7, vcc_lo, 0, v12, vcc_lo
	s_delay_alu instid0(VALU_DEP_2) | instskip(SKIP_1) | instid1(VALU_DEP_2)
	v_add_co_u32 v4, vcc_lo, v4, v11
	s_wait_alu 0xfffd
	v_add_co_ci_u32_e32 v9, vcc_lo, 0, v7, vcc_lo
	s_delay_alu instid0(VALU_DEP_2) | instskip(SKIP_1) | instid1(VALU_DEP_3)
	v_mul_lo_u32 v10, s19, v4
	v_mad_co_u64_u32 v[7:8], null, s18, v4, 0
	v_mul_lo_u32 v11, s18, v9
	s_delay_alu instid0(VALU_DEP_2) | instskip(NEXT) | instid1(VALU_DEP_2)
	v_sub_co_u32 v7, vcc_lo, v5, v7
	v_add3_u32 v8, v8, v11, v10
	s_delay_alu instid0(VALU_DEP_1) | instskip(SKIP_1) | instid1(VALU_DEP_1)
	v_sub_nc_u32_e32 v10, v6, v8
	s_wait_alu 0xfffd
	v_subrev_co_ci_u32_e64 v10, s2, s19, v10, vcc_lo
	v_add_co_u32 v11, s2, v4, 2
	s_wait_alu 0xf1ff
	v_add_co_ci_u32_e64 v12, s2, 0, v9, s2
	v_sub_co_u32 v13, s2, v7, s18
	v_sub_co_ci_u32_e32 v8, vcc_lo, v6, v8, vcc_lo
	s_wait_alu 0xf1ff
	v_subrev_co_ci_u32_e64 v10, s2, 0, v10, s2
	s_delay_alu instid0(VALU_DEP_3) | instskip(NEXT) | instid1(VALU_DEP_3)
	v_cmp_le_u32_e32 vcc_lo, s18, v13
	v_cmp_eq_u32_e64 s2, s19, v8
	s_wait_alu 0xfffd
	v_cndmask_b32_e64 v13, 0, -1, vcc_lo
	v_cmp_le_u32_e32 vcc_lo, s19, v10
	s_wait_alu 0xfffd
	v_cndmask_b32_e64 v14, 0, -1, vcc_lo
	v_cmp_le_u32_e32 vcc_lo, s18, v7
	;; [unrolled: 3-line block ×3, first 2 shown]
	s_wait_alu 0xfffd
	v_cndmask_b32_e64 v15, 0, -1, vcc_lo
	v_cmp_eq_u32_e32 vcc_lo, s19, v10
	s_wait_alu 0xf1ff
	s_delay_alu instid0(VALU_DEP_2)
	v_cndmask_b32_e64 v7, v15, v7, s2
	s_wait_alu 0xfffd
	v_cndmask_b32_e32 v10, v14, v13, vcc_lo
	v_add_co_u32 v13, vcc_lo, v4, 1
	s_wait_alu 0xfffd
	v_add_co_ci_u32_e32 v14, vcc_lo, 0, v9, vcc_lo
	s_delay_alu instid0(VALU_DEP_3) | instskip(SKIP_2) | instid1(VALU_DEP_3)
	v_cmp_ne_u32_e32 vcc_lo, 0, v10
	s_wait_alu 0xfffd
	v_cndmask_b32_e32 v10, v13, v11, vcc_lo
	v_cndmask_b32_e32 v8, v14, v12, vcc_lo
	v_cmp_ne_u32_e32 vcc_lo, 0, v7
	s_wait_alu 0xfffd
	s_delay_alu instid0(VALU_DEP_2)
	v_dual_cndmask_b32 v7, v4, v10 :: v_dual_cndmask_b32 v8, v9, v8
.LBB0_4:                                ;   in Loop: Header=BB0_2 Depth=1
	s_wait_alu 0xfffe
	s_and_not1_saveexec_b32 s2, s20
	s_cbranch_execz .LBB0_6
; %bb.5:                                ;   in Loop: Header=BB0_2 Depth=1
	v_cvt_f32_u32_e32 v4, s18
	s_sub_co_i32 s20, 0, s18
	s_delay_alu instid0(VALU_DEP_1) | instskip(NEXT) | instid1(TRANS32_DEP_1)
	v_rcp_iflag_f32_e32 v4, v4
	v_mul_f32_e32 v4, 0x4f7ffffe, v4
	s_delay_alu instid0(VALU_DEP_1) | instskip(SKIP_1) | instid1(VALU_DEP_1)
	v_cvt_u32_f32_e32 v4, v4
	s_wait_alu 0xfffe
	v_mul_lo_u32 v7, s20, v4
	s_delay_alu instid0(VALU_DEP_1) | instskip(NEXT) | instid1(VALU_DEP_1)
	v_mul_hi_u32 v7, v4, v7
	v_add_nc_u32_e32 v4, v4, v7
	s_delay_alu instid0(VALU_DEP_1) | instskip(NEXT) | instid1(VALU_DEP_1)
	v_mul_hi_u32 v4, v5, v4
	v_mul_lo_u32 v7, v4, s18
	v_add_nc_u32_e32 v8, 1, v4
	s_delay_alu instid0(VALU_DEP_2) | instskip(NEXT) | instid1(VALU_DEP_1)
	v_sub_nc_u32_e32 v7, v5, v7
	v_subrev_nc_u32_e32 v9, s18, v7
	v_cmp_le_u32_e32 vcc_lo, s18, v7
	s_wait_alu 0xfffd
	s_delay_alu instid0(VALU_DEP_2) | instskip(NEXT) | instid1(VALU_DEP_1)
	v_dual_cndmask_b32 v7, v7, v9 :: v_dual_cndmask_b32 v4, v4, v8
	v_cmp_le_u32_e32 vcc_lo, s18, v7
	s_delay_alu instid0(VALU_DEP_2) | instskip(SKIP_1) | instid1(VALU_DEP_1)
	v_add_nc_u32_e32 v8, 1, v4
	s_wait_alu 0xfffd
	v_dual_cndmask_b32 v7, v4, v8 :: v_dual_mov_b32 v8, v3
.LBB0_6:                                ;   in Loop: Header=BB0_2 Depth=1
	s_wait_alu 0xfffe
	s_or_b32 exec_lo, exec_lo, s2
	s_load_b64 s[20:21], s[12:13], 0x0
	s_delay_alu instid0(VALU_DEP_1)
	v_mul_lo_u32 v4, v8, s18
	v_mul_lo_u32 v11, v7, s19
	v_mad_co_u64_u32 v[9:10], null, v7, s18, 0
	s_add_nc_u64 s[14:15], s[14:15], 1
	s_add_nc_u64 s[12:13], s[12:13], 8
	s_wait_alu 0xfffe
	v_cmp_ge_u64_e64 s2, s[14:15], s[6:7]
	s_add_nc_u64 s[16:17], s[16:17], 8
	s_delay_alu instid0(VALU_DEP_2) | instskip(NEXT) | instid1(VALU_DEP_3)
	v_add3_u32 v4, v10, v11, v4
	v_sub_co_u32 v5, vcc_lo, v5, v9
	s_wait_alu 0xfffd
	s_delay_alu instid0(VALU_DEP_2) | instskip(SKIP_3) | instid1(VALU_DEP_2)
	v_sub_co_ci_u32_e32 v4, vcc_lo, v6, v4, vcc_lo
	s_and_b32 vcc_lo, exec_lo, s2
	s_wait_kmcnt 0x0
	v_mul_lo_u32 v6, s21, v5
	v_mul_lo_u32 v4, s20, v4
	v_mad_co_u64_u32 v[1:2], null, s20, v5, v[1:2]
	s_delay_alu instid0(VALU_DEP_1)
	v_add3_u32 v2, v6, v2, v4
	s_wait_alu 0xfffe
	s_cbranch_vccnz .LBB0_9
; %bb.7:                                ;   in Loop: Header=BB0_2 Depth=1
	v_dual_mov_b32 v5, v7 :: v_dual_mov_b32 v6, v8
	s_branch .LBB0_2
.LBB0_8:
	v_dual_mov_b32 v8, v6 :: v_dual_mov_b32 v7, v5
.LBB0_9:
	s_lshl_b64 s[2:3], s[6:7], 3
	v_mul_hi_u32 v3, 0x2d82d83, v0
	s_wait_alu 0xfffe
	s_add_nc_u64 s[2:3], s[10:11], s[2:3]
	s_load_b64 s[0:1], s[0:1], 0x20
	s_load_b64 s[2:3], s[2:3], 0x0
	s_delay_alu instid0(VALU_DEP_1) | instskip(NEXT) | instid1(VALU_DEP_1)
	v_mul_u32_u24_e32 v3, 0x5a, v3
	v_sub_nc_u32_e32 v112, v0, v3
	s_delay_alu instid0(VALU_DEP_1)
	v_add_nc_u32_e32 v117, 0x5a, v112
	v_add_nc_u32_e32 v125, 0xb4, v112
	;; [unrolled: 1-line block ×4, first 2 shown]
	s_wait_kmcnt 0x0
	v_cmp_gt_u64_e32 vcc_lo, s[0:1], v[7:8]
	v_mul_lo_u32 v3, s2, v8
	v_mul_lo_u32 v4, s3, v7
	v_mad_co_u64_u32 v[0:1], null, s2, v7, v[1:2]
	v_cmp_le_u64_e64 s0, s[0:1], v[7:8]
	v_add_nc_u32_e32 v122, 0x1c2, v112
	v_add_nc_u32_e32 v121, 0x21c, v112
	;; [unrolled: 1-line block ×5, first 2 shown]
	v_add3_u32 v1, v4, v1, v3
	s_and_saveexec_b32 s1, s0
	s_wait_alu 0xfffe
	s_xor_b32 s0, exec_lo, s1
; %bb.10:
	v_add_nc_u32_e32 v117, 0x5a, v112
	v_add_nc_u32_e32 v125, 0xb4, v112
	;; [unrolled: 1-line block ×9, first 2 shown]
; %bb.11:
	s_wait_alu 0xfffe
	s_or_saveexec_b32 s1, s0
	v_lshlrev_b64_e32 v[114:115], 4, v[0:1]
	s_wait_alu 0xfffe
	s_xor_b32 exec_lo, exec_lo, s1
	s_cbranch_execz .LBB0_13
; %bb.12:
	v_mov_b32_e32 v113, 0
	s_delay_alu instid0(VALU_DEP_2) | instskip(SKIP_2) | instid1(VALU_DEP_3)
	v_add_co_u32 v2, s0, s8, v114
	s_wait_alu 0xf1ff
	v_add_co_ci_u32_e64 v3, s0, s9, v115, s0
	v_lshlrev_b64_e32 v[0:1], 4, v[112:113]
	v_lshl_add_u32 v113, v112, 4, 0
	s_delay_alu instid0(VALU_DEP_2) | instskip(SKIP_1) | instid1(VALU_DEP_3)
	v_add_co_u32 v130, s0, v2, v0
	s_wait_alu 0xf1ff
	v_add_co_ci_u32_e64 v131, s0, v3, v1, s0
	s_clause 0x1d
	global_load_b128 v[0:3], v[130:131], off offset:1440
	global_load_b128 v[4:7], v[130:131], off offset:2880
	;; [unrolled: 1-line block ×28, first 2 shown]
	global_load_b128 v[126:129], v[130:131], off
	global_load_b128 v[130:133], v[130:131], off offset:41760
	s_wait_loadcnt 0x1d
	ds_store_b128 v113, v[0:3] offset:1440
	s_wait_loadcnt 0x1c
	ds_store_b128 v113, v[4:7] offset:2880
	;; [unrolled: 2-line block ×28, first 2 shown]
	s_wait_loadcnt 0x1
	ds_store_b128 v113, v[126:129]
	s_wait_loadcnt 0x0
	ds_store_b128 v113, v[130:133] offset:41760
.LBB0_13:
	s_or_b32 exec_lo, exec_lo, s1
	v_lshlrev_b32_e32 v113, 4, v112
	global_wb scope:SCOPE_SE
	s_wait_dscnt 0x0
	s_barrier_signal -1
	s_barrier_wait -1
	global_inv scope:SCOPE_SE
	v_add_nc_u32_e32 v196, 0, v113
	s_mov_b32 s2, 0xe8584caa
	s_mov_b32 s3, 0x3febb67a
	;; [unrolled: 1-line block ×3, first 2 shown]
	s_wait_alu 0xfffe
	s_mov_b32 s6, s2
	ds_load_b128 v[16:19], v196
	ds_load_b128 v[12:15], v196 offset:14400
	ds_load_b128 v[20:23], v196 offset:15840
	;; [unrolled: 1-line block ×20, first 2 shown]
	s_wait_dscnt 0x13
	v_add_f64_e32 v[104:105], v[16:17], v[12:13]
	v_add_f64_e32 v[106:107], v[18:19], v[14:15]
	s_wait_dscnt 0x11
	v_add_f64_e32 v[108:109], v[8:9], v[20:21]
	v_add_f64_e32 v[110:111], v[10:11], v[22:23]
	;; [unrolled: 3-line block ×4, first 2 shown]
	ds_load_b128 v[84:87], v196 offset:27360
	s_wait_dscnt 0xb
	v_add_f64_e32 v[134:135], v[12:13], v[40:41]
	v_add_f64_e32 v[136:137], v[14:15], v[42:43]
	ds_load_b128 v[88:91], v196 offset:10080
	ds_load_b128 v[92:95], v196 offset:11520
	;; [unrolled: 1-line block ×4, first 2 shown]
	s_wait_dscnt 0xd
	v_add_f64_e32 v[140:141], v[46:47], v[50:51]
	s_wait_dscnt 0xc
	v_add_f64_e32 v[150:151], v[20:21], v[52:53]
	v_add_f64_e32 v[154:155], v[22:23], v[54:55]
	;; [unrolled: 1-line block ×3, first 2 shown]
	s_wait_dscnt 0xb
	v_add_f64_e32 v[158:159], v[28:29], v[56:57]
	s_wait_dscnt 0x6
	v_add_f64_e32 v[144:145], v[68:69], v[76:77]
	;; [unrolled: 2-line block ×3, first 2 shown]
	v_add_f64_e32 v[164:165], v[74:75], v[82:83]
	v_add_f64_e32 v[148:149], v[70:71], v[78:79]
	v_add_f64_e64 v[162:163], v[30:31], -v[58:59]
	v_add_f64_e32 v[166:167], v[30:31], v[58:59]
	v_add_f64_e64 v[168:169], v[28:29], -v[56:57]
	ds_load_b128 v[28:31], v196 offset:36000
	v_add_f64_e64 v[142:143], v[14:15], -v[42:43]
	v_add_f64_e64 v[146:147], v[12:13], -v[40:41]
	;; [unrolled: 1-line block ×4, first 2 shown]
	v_add_f64_e32 v[170:171], v[36:37], v[60:61]
	s_wait_dscnt 0x2
	v_add_f64_e32 v[176:177], v[88:89], v[96:97]
	v_add_f64_e32 v[180:181], v[90:91], v[98:99]
	v_add_f64_e64 v[172:173], v[38:39], -v[62:63]
	v_add_f64_e32 v[174:175], v[38:39], v[62:63]
	v_add_f64_e64 v[178:179], v[36:37], -v[60:61]
	v_add_f64_e32 v[182:183], v[84:85], v[32:33]
	v_add_f64_e32 v[184:185], v[86:87], v[34:35]
	;; [unrolled: 1-line block ×8, first 2 shown]
	ds_load_b128 v[56:59], v196 offset:37440
	v_add_f64_e32 v[12:13], v[130:131], v[60:61]
	s_wait_dscnt 0x2
	v_add_f64_e32 v[130:131], v[92:93], v[100:101]
	v_fma_f64 v[104:105], v[134:135], -0.5, v[16:17]
	v_fma_f64 v[110:111], v[136:137], -0.5, v[18:19]
	v_add_f64_e32 v[106:107], v[48:49], v[64:65]
	v_add_f64_e64 v[108:109], v[50:51], -v[66:67]
	v_add_f64_e32 v[126:127], v[50:51], v[66:67]
	v_add_f64_e64 v[128:129], v[48:49], -v[64:65]
	ds_load_b128 v[48:51], v196 offset:38880
	v_add_f64_e32 v[14:15], v[132:133], v[62:63]
	ds_load_b128 v[60:63], v196 offset:40320
	s_wait_dscnt 0x3
	v_add_f64_e32 v[134:135], v[76:77], v[28:29]
	v_add_f64_e64 v[136:137], v[78:79], -v[30:31]
	v_add_f64_e32 v[78:79], v[78:79], v[30:31]
	v_add_f64_e32 v[22:23], v[140:141], v[66:67]
	;; [unrolled: 1-line block ×3, first 2 shown]
	v_fma_f64 v[140:141], v[150:151], -0.5, v[8:9]
	v_fma_f64 v[144:145], v[154:155], -0.5, v[10:11]
	v_add_f64_e32 v[18:19], v[148:149], v[30:31]
	s_wait_dscnt 0x2
	v_add_f64_e32 v[150:151], v[80:81], v[56:57]
	v_add_f64_e64 v[154:155], v[82:83], -v[58:59]
	v_add_f64_e32 v[82:83], v[82:83], v[58:59]
	v_add_f64_e32 v[8:9], v[160:161], v[56:57]
	;; [unrolled: 1-line block ×4, first 2 shown]
	v_add_f64_e64 v[76:77], v[76:77], -v[28:29]
	v_add_f64_e32 v[20:21], v[138:139], v[64:65]
	v_add_f64_e32 v[138:139], v[24:25], v[84:85]
	s_wait_dscnt 0x1
	v_add_f64_e32 v[160:161], v[96:97], v[48:49]
	v_add_f64_e32 v[164:165], v[98:99], v[50:51]
	;; [unrolled: 1-line block ×4, first 2 shown]
	s_wait_dscnt 0x0
	v_add_f64_e32 v[176:177], v[100:101], v[60:61]
	v_add_f64_e32 v[180:181], v[102:103], v[62:63]
	;; [unrolled: 1-line block ×3, first 2 shown]
	v_add_f64_e64 v[80:81], v[80:81], -v[56:57]
	v_add_f64_e64 v[98:99], v[98:99], -v[50:51]
	;; [unrolled: 1-line block ×5, first 2 shown]
	v_fma_f64 v[56:57], v[142:143], s[2:3], v[104:105]
	s_wait_alu 0xfffe
	v_fma_f64 v[64:65], v[142:143], s[6:7], v[104:105]
	v_fma_f64 v[58:59], v[146:147], s[6:7], v[110:111]
	;; [unrolled: 1-line block ×3, first 2 shown]
	v_fma_f64 v[104:105], v[158:159], -0.5, v[0:1]
	v_fma_f64 v[110:111], v[166:167], -0.5, v[2:3]
	v_add_f64_e32 v[0:1], v[130:131], v[60:61]
	v_fma_f64 v[130:131], v[170:171], -0.5, v[4:5]
	v_fma_f64 v[142:143], v[174:175], -0.5, v[6:7]
	;; [unrolled: 1-line block ×6, first 2 shown]
	v_add_f64_e64 v[134:135], v[84:85], -v[32:33]
	v_fma_f64 v[44:45], v[152:153], s[2:3], v[140:141]
	v_fma_f64 v[46:47], v[156:157], s[6:7], v[144:145]
	;; [unrolled: 1-line block ×4, first 2 shown]
	v_fma_f64 v[72:73], v[150:151], -0.5, v[72:73]
	v_fma_f64 v[74:75], v[82:83], -0.5, v[74:75]
	global_wb scope:SCOPE_SE
	s_barrier_signal -1
	v_add_f64_e32 v[2:3], v[132:133], v[62:63]
	v_add_f64_e64 v[132:133], v[86:87], -v[34:35]
	s_barrier_wait -1
	v_add_f64_e32 v[4:5], v[138:139], v[32:33]
	v_fma_f64 v[78:79], v[160:161], -0.5, v[88:89]
	v_fma_f64 v[82:83], v[164:165], -0.5, v[90:91]
	v_mad_u32_u24 v32, v112, 48, 0
	v_fma_f64 v[90:91], v[182:183], -0.5, v[24:25]
	v_fma_f64 v[84:85], v[176:177], -0.5, v[92:93]
	v_fma_f64 v[86:87], v[180:181], -0.5, v[94:95]
	v_fma_f64 v[94:95], v[184:185], -0.5, v[26:27]
	v_add_f64_e32 v[6:7], v[148:149], v[34:35]
	global_inv scope:SCOPE_SE
	v_mad_i32_i24 v88, v117, 48, 0
	v_and_b32_e32 v205, 0xff, v112
	ds_store_b128 v32, v[36:39]
	ds_store_b128 v32, v[56:59] offset:16
	ds_store_b128 v32, v[64:67] offset:32
	v_mad_i32_i24 v198, v121, 48, 0
	v_mad_i32_i24 v197, v116, 48, 0
	v_fma_f64 v[32:33], v[162:163], s[6:7], v[104:105]
	v_fma_f64 v[34:35], v[168:169], s[2:3], v[110:111]
	;; [unrolled: 1-line block ×10, first 2 shown]
	ds_store_b128 v88, v[40:43]
	ds_store_b128 v88, v[44:47] offset:16
	v_fma_f64 v[44:45], v[136:137], s[6:7], v[68:69]
	v_fma_f64 v[46:47], v[76:77], s[2:3], v[70:71]
	;; [unrolled: 1-line block ×6, first 2 shown]
	ds_store_b128 v88, v[48:51] offset:32
	v_fma_f64 v[48:49], v[154:155], s[2:3], v[72:73]
	v_fma_f64 v[50:51], v[80:81], s[6:7], v[74:75]
	v_fma_f64 v[68:69], v[154:155], s[6:7], v[72:73]
	v_fma_f64 v[70:71], v[80:81], s[2:3], v[74:75]
	v_fma_f64 v[72:73], v[98:99], s[2:3], v[78:79]
	v_fma_f64 v[76:77], v[98:99], s[6:7], v[78:79]
	v_fma_f64 v[78:79], v[96:97], s[2:3], v[82:83]
	v_fma_f64 v[74:75], v[96:97], s[6:7], v[82:83]
	v_fma_f64 v[80:81], v[102:103], s[2:3], v[84:85]
	v_fma_f64 v[82:83], v[100:101], s[6:7], v[86:87]
	v_mad_i32_i24 v96, v125, 48, 0
	v_mad_i32_i24 v97, v124, 48, 0
	v_fma_f64 v[84:85], v[102:103], s[6:7], v[84:85]
	v_fma_f64 v[86:87], v[100:101], s[2:3], v[86:87]
	;; [unrolled: 1-line block ×6, first 2 shown]
	ds_store_b128 v96, v[52:55]
	ds_store_b128 v96, v[24:27] offset:16
	ds_store_b128 v96, v[32:35] offset:32
	ds_store_b128 v97, v[12:15]
	ds_store_b128 v97, v[36:39] offset:16
	v_mul_lo_u16 v12, 0xab, v205
	v_mad_i32_i24 v24, v123, 48, 0
	v_mad_i32_i24 v13, v122, 48, 0
	ds_store_b128 v97, v[56:59] offset:32
	ds_store_b128 v24, v[20:23]
	ds_store_b128 v24, v[60:63] offset:16
	v_lshrrev_b16 v212, 9, v12
	ds_store_b128 v24, v[64:67] offset:32
	ds_store_b128 v13, v[16:19]
	ds_store_b128 v13, v[40:43] offset:16
	ds_store_b128 v13, v[44:47] offset:32
	ds_store_b128 v198, v[8:11]
	ds_store_b128 v198, v[48:51] offset:16
	v_mul_lo_u16 v12, v212, 3
	v_mad_i32_i24 v13, v120, 48, 0
	v_mad_i32_i24 v9, v119, 48, 0
	ds_store_b128 v198, v[68:71] offset:32
	ds_store_b128 v13, v[28:31]
	ds_store_b128 v13, v[72:75] offset:16
	v_sub_nc_u16 v8, v112, v12
	ds_store_b128 v13, v[76:79] offset:32
	ds_store_b128 v9, v[0:3]
	ds_store_b128 v9, v[80:83] offset:16
	v_and_b32_e32 v206, 0xff, v117
	ds_store_b128 v9, v[84:87] offset:32
	ds_store_b128 v197, v[4:7]
	ds_store_b128 v197, v[88:91] offset:16
	ds_store_b128 v197, v[92:95] offset:32
	v_and_b32_e32 v211, 0xff, v8
	global_wb scope:SCOPE_SE
	s_wait_dscnt 0x0
	s_barrier_signal -1
	s_barrier_wait -1
	global_inv scope:SCOPE_SE
	v_mul_u32_u24_e32 v0, 9, v211
	v_mul_lo_u16 v1, 0xab, v206
	v_and_b32_e32 v207, 0xffff, v125
	v_lshlrev_b32_e32 v118, 5, v121
	v_lshlrev_b32_e32 v200, 5, v116
	;; [unrolled: 1-line block ×3, first 2 shown]
	s_clause 0x4
	global_load_b128 v[64:67], v0, s[4:5]
	global_load_b128 v[40:43], v0, s[4:5] offset:16
	global_load_b128 v[36:39], v0, s[4:5] offset:32
	;; [unrolled: 1-line block ×4, first 2 shown]
	v_lshrrev_b16 v210, 9, v1
	s_clause 0x3
	global_load_b128 v[44:47], v0, s[4:5] offset:80
	global_load_b128 v[96:99], v0, s[4:5] offset:96
	;; [unrolled: 1-line block ×4, first 2 shown]
	v_mul_lo_u16 v1, v210, 3
	v_lshl_add_u32 v199, v124, 4, 0
	v_sub_nc_u32_e32 v202, v198, v118
	v_sub_nc_u32_e32 v201, v197, v200
	s_mov_b32 s0, 0x134454ff
	v_sub_nc_u16 v1, v117, v1
	s_mov_b32 s1, 0x3fee6f0e
	s_mov_b32 s11, 0xbfee6f0e
	s_wait_alu 0xfffe
	s_mov_b32 s10, s0
	s_mov_b32 s12, 0x4755a5e
	v_and_b32_e32 v213, 0xff, v1
	v_mul_u32_u24_e32 v1, 0xaaab, v207
	s_mov_b32 s13, 0x3fe2cf23
	s_mov_b32 s15, 0xbfe2cf23
	;; [unrolled: 1-line block ×3, first 2 shown]
	v_mul_u32_u24_e32 v2, 9, v213
	v_lshrrev_b32_e32 v208, 17, v1
	s_mov_b32 s16, 0x372fe950
	s_mov_b32 s17, 0x3fd3c6ef
	;; [unrolled: 1-line block ×3, first 2 shown]
	v_lshlrev_b32_e32 v8, 4, v2
	v_mul_lo_u16 v0, v208, 3
	s_mov_b32 s19, 0x3fe9e377
	s_clause 0x1
	global_load_b128 v[88:91], v8, s[4:5] offset:16
	global_load_b128 v[80:83], v8, s[4:5] offset:48
	v_sub_nc_u16 v0, v125, v0
	s_clause 0x1
	global_load_b128 v[76:79], v8, s[4:5] offset:80
	global_load_b128 v[72:75], v8, s[4:5] offset:112
	v_and_b32_e32 v209, 0xffff, v0
	s_delay_alu instid0(VALU_DEP_1) | instskip(NEXT) | instid1(VALU_DEP_1)
	v_mul_u32_u24_e32 v0, 9, v209
	v_lshlrev_b32_e32 v56, 4, v0
	s_clause 0xd
	global_load_b128 v[100:103], v56, s[4:5] offset:16
	global_load_b128 v[104:107], v56, s[4:5] offset:48
	;; [unrolled: 1-line block ×3, first 2 shown]
	global_load_b128 v[16:19], v8, s[4:5]
	global_load_b128 v[4:7], v8, s[4:5] offset:32
	global_load_b128 v[0:3], v8, s[4:5] offset:64
	global_load_b128 v[32:35], v56, s[4:5] offset:112
	global_load_b128 v[28:31], v8, s[4:5] offset:96
	global_load_b128 v[24:27], v8, s[4:5] offset:128
	global_load_b128 v[20:23], v56, s[4:5]
	global_load_b128 v[12:15], v56, s[4:5] offset:32
	global_load_b128 v[8:11], v56, s[4:5] offset:64
	;; [unrolled: 1-line block ×4, first 2 shown]
	ds_load_b128 v[126:129], v199
	ds_load_b128 v[130:133], v202
	ds_load_b128 v[134:137], v201
	ds_load_b128 v[138:141], v196 offset:17280
	ds_load_b128 v[68:71], v196 offset:31680
	;; [unrolled: 1-line block ×12, first 2 shown]
	s_wait_loadcnt_dscnt 0x1a0e
	v_mul_f64_e32 v[146:147], v[128:129], v[66:67]
	s_wait_loadcnt_dscnt 0x190d
	v_mul_f64_e32 v[148:149], v[132:133], v[42:43]
	v_mul_f64_e32 v[66:67], v[126:127], v[66:67]
	s_wait_loadcnt_dscnt 0x170b
	v_mul_f64_e32 v[186:187], v[140:141], v[54:55]
	v_mul_f64_e32 v[188:189], v[138:139], v[54:55]
	;; [unrolled: 1-line block ×5, first 2 shown]
	s_wait_loadcnt_dscnt 0x1609
	v_mul_f64_e32 v[190:191], v[144:145], v[50:51]
	v_mul_f64_e32 v[50:51], v[142:143], v[50:51]
	s_wait_loadcnt_dscnt 0x1508
	v_mul_f64_e32 v[203:204], v[154:155], v[46:47]
	v_mul_f64_e32 v[222:223], v[152:153], v[46:47]
	s_wait_loadcnt_dscnt 0x1407
	v_mul_f64_e32 v[224:225], v[158:159], v[98:99]
	v_mul_f64_e32 v[226:227], v[156:157], v[98:99]
	s_wait_loadcnt_dscnt 0x1305
	v_mul_f64_e32 v[228:229], v[166:167], v[94:95]
	v_mul_f64_e32 v[230:231], v[164:165], v[94:95]
	s_wait_loadcnt_dscnt 0x1203
	v_mul_f64_e32 v[232:233], v[170:171], v[86:87]
	s_wait_loadcnt_dscnt 0xf01
	v_mul_f64_e32 v[234:235], v[178:179], v[78:79]
	v_fma_f64 v[98:99], v[126:127], v[64:65], -v[146:147]
	v_fma_f64 v[126:127], v[130:131], v[40:41], -v[148:149]
	;; [unrolled: 1-line block ×3, first 2 shown]
	v_fma_f64 v[146:147], v[140:141], v[52:53], v[188:189]
	v_mul_f64_e32 v[186:187], v[162:163], v[82:83]
	v_mul_f64_e32 v[188:189], v[160:161], v[82:83]
	v_fma_f64 v[54:55], v[128:129], v[64:65], v[66:67]
	ds_load_b128 v[64:67], v196 offset:33120
	v_fma_f64 v[128:129], v[132:133], v[40:41], v[42:43]
	ds_load_b128 v[214:217], v196 offset:36000
	ds_load_b128 v[38:41], v196 offset:40320
	v_fma_f64 v[130:131], v[134:135], v[36:37], -v[150:151]
	v_fma_f64 v[136:137], v[136:137], v[36:37], v[180:181]
	v_mul_f64_e32 v[36:37], v[168:169], v[86:87]
	ds_load_b128 v[218:221], v196 offset:11520
	v_mul_f64_e32 v[86:87], v[174:175], v[90:91]
	v_mul_f64_e32 v[180:181], v[172:173], v[90:91]
	v_fma_f64 v[138:139], v[142:143], v[48:49], -v[190:191]
	v_fma_f64 v[140:141], v[144:145], v[48:49], v[50:51]
	ds_load_b128 v[46:49], v196 offset:37440
	v_mul_f64_e32 v[190:191], v[176:177], v[78:79]
	v_fma_f64 v[152:153], v[152:153], v[44:45], -v[203:204]
	v_fma_f64 v[150:151], v[154:155], v[44:45], v[222:223]
	v_fma_f64 v[144:145], v[156:157], v[96:97], -v[224:225]
	v_fma_f64 v[142:143], v[158:159], v[96:97], v[226:227]
	s_wait_loadcnt 0xc
	v_mul_f64_e32 v[224:225], v[184:185], v[106:107]
	v_fma_f64 v[134:135], v[164:165], v[92:93], -v[228:229]
	v_fma_f64 v[132:133], v[166:167], v[92:93], v[230:231]
	v_mul_f64_e32 v[226:227], v[182:183], v[106:107]
	s_wait_dscnt 0x3
	v_mul_f64_e32 v[236:237], v[216:217], v[74:75]
	v_mul_f64_e32 v[203:204], v[214:215], v[74:75]
	s_wait_loadcnt 0xb
	v_mul_f64_e32 v[228:229], v[194:195], v[110:111]
	v_mul_f64_e32 v[230:231], v[192:193], v[110:111]
	ds_load_b128 v[42:45], v196 offset:14400
	ds_load_b128 v[94:97], v196 offset:5760
	s_wait_dscnt 0x3
	v_mul_f64_e32 v[222:223], v[220:221], v[102:103]
	v_mul_f64_e32 v[238:239], v[218:219], v[102:103]
	ds_load_b128 v[90:93], v196 offset:23040
	ds_load_b128 v[50:53], v196 offset:7200
	v_fma_f64 v[74:75], v[168:169], v[84:85], -v[232:233]
	v_fma_f64 v[156:157], v[176:177], v[76:77], -v[234:235]
	;; [unrolled: 1-line block ×3, first 2 shown]
	v_fma_f64 v[154:155], v[162:163], v[80:81], v[188:189]
	s_wait_loadcnt_dscnt 0x704
	v_mul_f64_e32 v[186:187], v[48:49], v[34:35]
	v_mul_f64_e32 v[188:189], v[46:47], v[34:35]
	v_fma_f64 v[36:37], v[170:171], v[84:85], v[36:37]
	s_wait_dscnt 0x3
	v_mul_f64_e32 v[158:159], v[44:45], v[6:7]
	v_fma_f64 v[102:103], v[172:173], v[88:89], -v[86:87]
	v_fma_f64 v[106:107], v[174:175], v[88:89], v[180:181]
	ds_load_b128 v[86:89], v196 offset:15840
	ds_load_b128 v[82:85], v196 offset:24480
	;; [unrolled: 1-line block ×3, first 2 shown]
	s_wait_dscnt 0x5
	v_mul_f64_e32 v[164:165], v[96:97], v[18:19]
	v_mul_f64_e32 v[166:167], v[94:95], v[18:19]
	v_fma_f64 v[76:77], v[178:179], v[76:77], v[190:191]
	v_mul_f64_e32 v[160:161], v[42:43], v[6:7]
	s_wait_dscnt 0x4
	v_mul_f64_e32 v[162:163], v[92:93], v[2:3]
	v_mul_f64_e32 v[168:169], v[90:91], v[2:3]
	s_wait_loadcnt 0x6
	v_mul_f64_e32 v[170:171], v[70:71], v[30:31]
	v_mul_f64_e32 v[172:173], v[68:69], v[30:31]
	s_wait_loadcnt 0x5
	v_mul_f64_e32 v[174:175], v[40:41], v[26:27]
	s_wait_loadcnt_dscnt 0x403
	v_mul_f64_e32 v[176:177], v[52:53], v[22:23]
	v_fma_f64 v[18:19], v[214:215], v[72:73], -v[236:237]
	v_fma_f64 v[6:7], v[216:217], v[72:73], v[203:204]
	v_mul_f64_e32 v[178:179], v[50:51], v[22:23]
	v_fma_f64 v[22:23], v[184:185], v[104:105], v[226:227]
	s_wait_loadcnt 0x1
	v_mul_f64_e32 v[190:191], v[66:67], v[62:63]
	v_fma_f64 v[2:3], v[218:219], v[100:101], -v[222:223]
	v_fma_f64 v[30:31], v[220:221], v[100:101], v[238:239]
	v_mul_f64_e32 v[100:101], v[38:39], v[26:27]
	s_wait_dscnt 0x2
	v_mul_f64_e32 v[180:181], v[88:89], v[14:15]
	v_fma_f64 v[26:27], v[182:183], v[104:105], -v[224:225]
	v_mul_f64_e32 v[104:105], v[86:87], v[14:15]
	s_wait_dscnt 0x1
	v_mul_f64_e32 v[182:183], v[84:85], v[10:11]
	v_mul_f64_e32 v[184:185], v[82:83], v[10:11]
	v_fma_f64 v[14:15], v[192:193], v[108:109], -v[228:229]
	v_fma_f64 v[10:11], v[194:195], v[108:109], v[230:231]
	v_mul_f64_e32 v[108:109], v[64:65], v[62:63]
	v_fma_f64 v[34:35], v[46:47], v[32:33], -v[186:187]
	v_fma_f64 v[32:33], v[48:49], v[32:33], v[188:189]
	ds_load_b128 v[46:49], v196
	s_wait_loadcnt_dscnt 0x1
	v_mul_f64_e32 v[192:193], v[80:81], v[58:59]
	v_mul_f64_e32 v[194:195], v[78:79], v[58:59]
	v_add_f64_e64 v[214:215], v[146:147], -v[128:129]
	v_add_f64_e64 v[216:217], v[150:151], -v[132:133]
	v_lshl_add_u32 v203, v117, 4, 0
	v_lshl_add_u32 v204, v125, 4, 0
	v_add_f64_e64 v[218:219], v[138:139], -v[130:131]
	v_add_f64_e64 v[220:221], v[144:145], -v[74:75]
	;; [unrolled: 1-line block ×3, first 2 shown]
	v_fma_f64 v[72:73], v[94:95], v[16:17], -v[164:165]
	v_fma_f64 v[62:63], v[96:97], v[16:17], v[166:167]
	v_fma_f64 v[16:17], v[42:43], v[4:5], -v[158:159]
	v_fma_f64 v[42:43], v[44:45], v[4:5], v[160:161]
	;; [unrolled: 2-line block ×4, first 2 shown]
	v_fma_f64 v[0:1], v[38:39], v[24:25], -v[174:175]
	v_fma_f64 v[68:69], v[50:51], v[20:21], -v[176:177]
	v_add_f64_e32 v[28:29], v[148:149], v[152:153]
	v_add_f64_e32 v[38:39], v[126:127], v[134:135]
	v_fma_f64 v[50:51], v[52:53], v[20:21], v[178:179]
	v_add_f64_e32 v[44:45], v[128:129], v[132:133]
	v_fma_f64 v[64:65], v[64:65], v[60:61], -v[190:191]
	v_add_f64_e64 v[160:161], v[132:133], -v[150:151]
	v_add_f64_e64 v[176:177], v[130:131], -v[138:139]
	v_fma_f64 v[4:5], v[40:41], v[24:25], v[100:101]
	v_fma_f64 v[20:21], v[86:87], v[12:13], -v[180:181]
	v_add_f64_e32 v[40:41], v[146:147], v[150:151]
	v_fma_f64 v[24:25], v[88:89], v[12:13], v[104:105]
	v_fma_f64 v[82:83], v[82:83], v[8:9], -v[182:183]
	v_fma_f64 v[52:53], v[84:85], v[8:9], v[184:185]
	v_add_f64_e32 v[86:87], v[106:107], v[6:7]
	v_add_f64_e64 v[104:105], v[128:129], -v[146:147]
	v_fma_f64 v[58:59], v[66:67], v[60:61], v[108:109]
	v_add_f64_e64 v[60:61], v[134:135], -v[152:153]
	v_add_f64_e32 v[66:67], v[110:111], v[156:157]
	v_add_f64_e32 v[168:169], v[26:27], v[14:15]
	v_fma_f64 v[8:9], v[78:79], v[56:57], -v[192:193]
	v_fma_f64 v[12:13], v[80:81], v[56:57], v[194:195]
	v_add_f64_e64 v[56:57], v[126:127], -v[148:149]
	v_add_f64_e32 v[78:79], v[102:103], v[18:19]
	v_add_f64_e32 v[80:81], v[154:155], v[76:77]
	;; [unrolled: 1-line block ×5, first 2 shown]
	v_add_f64_e64 v[178:179], v[74:75], -v[144:145]
	v_add_f64_e64 v[182:183], v[136:137], -v[140:141]
	v_add_f64_e64 v[184:185], v[36:37], -v[142:143]
	v_add_f64_e64 v[190:191], v[148:149], -v[126:127]
	v_add_f64_e64 v[192:193], v[152:153], -v[134:135]
	ds_load_b128 v[164:167], v203
	ds_load_b128 v[186:189], v204
	s_wait_dscnt 0x2
	v_add_f64_e32 v[180:181], v[46:47], v[126:127]
	v_add_f64_e32 v[194:195], v[48:49], v[128:129]
	v_add_f64_e64 v[224:225], v[142:143], -v[36:37]
	v_add_f64_e64 v[226:227], v[102:103], -v[110:111]
	;; [unrolled: 1-line block ×3, first 2 shown]
	v_fma_f64 v[100:101], v[28:29], -0.5, v[46:47]
	v_fma_f64 v[158:159], v[38:39], -0.5, v[46:47]
	v_add_f64_e64 v[234:235], v[106:107], -v[154:155]
	v_fma_f64 v[108:109], v[44:45], -0.5, v[48:49]
	v_add_f64_e64 v[236:237], v[6:7], -v[76:77]
	v_add_f64_e64 v[240:241], v[16:17], -v[90:91]
	;; [unrolled: 1-line block ×5, first 2 shown]
	v_fma_f64 v[96:97], v[40:41], -0.5, v[48:49]
	v_add_f64_e64 v[126:127], v[126:127], -v[134:135]
	v_add_f64_e64 v[128:129], v[128:129], -v[132:133]
	global_wb scope:SCOPE_SE
	s_wait_dscnt 0x0
	v_add_f64_e32 v[230:231], v[164:165], v[102:103]
	v_add_f64_e32 v[232:233], v[166:167], v[106:107]
	;; [unrolled: 1-line block ×3, first 2 shown]
	v_fma_f64 v[86:87], v[86:87], -0.5, v[166:167]
	v_fma_f64 v[84:85], v[66:67], -0.5, v[164:165]
	;; [unrolled: 1-line block ×3, first 2 shown]
	v_add_f64_e64 v[168:169], v[110:111], -v[102:103]
	v_add_f64_e32 v[48:49], v[104:105], v[160:161]
	v_add_f64_e32 v[46:47], v[56:57], v[60:61]
	v_fma_f64 v[88:89], v[78:79], -0.5, v[164:165]
	v_fma_f64 v[80:81], v[80:81], -0.5, v[166:167]
	;; [unrolled: 1-line block ×5, first 2 shown]
	v_add_f64_e64 v[170:171], v[156:157], -v[18:19]
	v_add_f64_e64 v[172:173], v[154:155], -v[106:107]
	;; [unrolled: 1-line block ×3, first 2 shown]
	v_add_f64_e32 v[166:167], v[176:177], v[178:179]
	v_add_f64_e64 v[174:175], v[90:91], -v[16:17]
	v_add_f64_e32 v[164:165], v[182:183], v[184:185]
	v_add_f64_e64 v[176:177], v[94:95], -v[0:1]
	;; [unrolled: 2-line block ×4, first 2 shown]
	v_add_f64_e64 v[186:187], v[20:21], -v[82:83]
	v_add_f64_e64 v[190:191], v[8:9], -v[64:65]
	;; [unrolled: 1-line block ×4, first 2 shown]
	v_add_f64_e32 v[238:239], v[188:189], v[30:31]
	v_add_f64_e32 v[184:185], v[218:219], v[220:221]
	;; [unrolled: 1-line block ×3, first 2 shown]
	v_add_f64_e64 v[218:219], v[82:83], -v[20:21]
	v_add_f64_e64 v[222:223], v[64:65], -v[8:9]
	v_add_f64_e32 v[180:181], v[180:181], v[148:149]
	v_add_f64_e32 v[194:195], v[194:195], v[146:147]
	v_add_f64_e64 v[148:149], v[148:149], -v[152:153]
	v_add_f64_e64 v[146:147], v[146:147], -v[150:151]
	v_add_f64_e32 v[66:67], v[226:227], v[228:229]
	v_add_f64_e32 v[224:225], v[232:233], v[154:155]
	v_add_f64_e64 v[154:155], v[154:155], -v[76:77]
	v_add_f64_e32 v[226:227], v[24:25], v[12:13]
	v_add_f64_e64 v[102:103], v[102:103], -v[18:19]
	v_add_f64_e64 v[106:107], v[106:107], -v[6:7]
	v_add_f64_e32 v[216:217], v[240:241], v[242:243]
	v_add_f64_e32 v[220:221], v[244:245], v[246:247]
	v_add_f64_e32 v[78:79], v[234:235], v[236:237]
	s_barrier_signal -1
	s_barrier_wait -1
	global_inv scope:SCOPE_SE
	v_add_f64_e32 v[104:105], v[168:169], v[170:171]
	v_add_f64_e64 v[168:169], v[52:53], -v[24:25]
	v_add_f64_e32 v[160:161], v[172:173], v[160:161]
	v_add_f64_e64 v[170:171], v[58:59], -v[12:13]
	;; [unrolled: 2-line block ×7, first 2 shown]
	v_add_f64_e32 v[152:153], v[180:181], v[152:153]
	v_add_f64_e32 v[180:181], v[130:131], v[74:75]
	;; [unrolled: 1-line block ×5, first 2 shown]
	v_add_f64_e64 v[110:111], v[110:111], -v[156:157]
	v_add_f64_e32 v[76:77], v[224:225], v[76:77]
	v_add_f64_e32 v[224:225], v[42:43], v[4:5]
	v_fma_f64 v[226:227], v[226:227], -0.5, v[50:51]
	v_add_f64_e32 v[168:169], v[168:169], v[170:171]
	v_add_f64_e64 v[170:171], v[14:15], -v[34:35]
	v_add_f64_e32 v[174:175], v[174:175], v[178:179]
	v_add_f64_e64 v[178:179], v[22:23], -v[30:31]
	v_add_f64_e64 v[30:31], v[30:31], -v[32:33]
	v_add_f64_e32 v[186:187], v[186:187], v[192:193]
	v_add_f64_e64 v[192:193], v[10:11], -v[32:33]
	v_add_f64_e32 v[134:135], v[152:153], v[134:135]
	v_fma_f64 v[180:181], v[180:181], -0.5, v[98:99]
	v_add_f64_e32 v[132:133], v[150:151], v[132:133]
	v_fma_f64 v[194:195], v[194:195], -0.5, v[54:55]
	v_add_f64_e32 v[156:157], v[222:223], v[156:157]
	v_add_f64_e32 v[222:223], v[92:93], v[70:71]
	v_fma_f64 v[150:151], v[126:127], s[10:11], v[96:97]
	v_fma_f64 v[224:225], v[224:225], -0.5, v[62:63]
	v_fma_f64 v[96:97], v[126:127], s[0:1], v[96:97]
	v_fma_f64 v[152:153], v[128:129], s[0:1], v[100:101]
	v_fma_f64 v[100:101], v[128:129], s[10:11], v[100:101]
	v_add_f64_e32 v[76:77], v[76:77], v[6:7]
	v_add_f64_e32 v[170:171], v[218:219], v[170:171]
	;; [unrolled: 1-line block ×6, first 2 shown]
	v_fma_f64 v[222:223], v[222:223], -0.5, v[62:63]
	v_add_f64_e32 v[62:63], v[62:63], v[42:43]
	v_add_f64_e64 v[42:43], v[42:43], -v[4:5]
	s_wait_alu 0xfffe
	v_fma_f64 v[150:151], v[148:149], s[14:15], v[150:151]
	v_fma_f64 v[96:97], v[148:149], s[12:13], v[96:97]
	;; [unrolled: 1-line block ×4, first 2 shown]
	v_fma_f64 v[218:219], v[218:219], -0.5, v[54:55]
	v_add_f64_e32 v[54:55], v[54:55], v[136:137]
	v_fma_f64 v[192:193], v[192:193], -0.5, v[98:99]
	v_add_f64_e32 v[98:99], v[98:99], v[130:131]
	v_add_f64_e32 v[62:63], v[62:63], v[92:93]
	v_add_f64_e64 v[92:93], v[92:93], -v[70:71]
	v_fma_f64 v[150:151], v[48:49], s[16:17], v[150:151]
	v_fma_f64 v[96:97], v[48:49], s[16:17], v[96:97]
	;; [unrolled: 1-line block ×3, first 2 shown]
	v_add_f64_e32 v[54:55], v[54:55], v[140:141]
	v_add_f64_e64 v[140:141], v[140:141], -v[142:143]
	v_add_f64_e32 v[98:99], v[98:99], v[138:139]
	v_add_f64_e64 v[138:139], v[138:139], -v[144:145]
	v_add_f64_e32 v[62:63], v[62:63], v[70:71]
	v_add_f64_e32 v[70:71], v[20:21], v[8:9]
	;; [unrolled: 1-line block ×7, first 2 shown]
	v_fma_f64 v[70:71], v[70:71], -0.5, v[68:69]
	v_fma_f64 v[142:143], v[142:143], -0.5, v[72:73]
	s_delay_alu instid0(VALU_DEP_4) | instskip(SKIP_2) | instid1(VALU_DEP_2)
	v_fma_f64 v[144:145], v[144:145], -0.5, v[72:73]
	v_add_f64_e32 v[72:73], v[72:73], v[16:17]
	v_add_f64_e64 v[16:17], v[16:17], -v[0:1]
	v_add_f64_e32 v[72:73], v[72:73], v[90:91]
	v_add_f64_e64 v[90:91], v[90:91], -v[94:95]
	s_delay_alu instid0(VALU_DEP_2) | instskip(SKIP_1) | instid1(VALU_DEP_2)
	v_add_f64_e32 v[72:73], v[72:73], v[94:95]
	v_add_f64_e32 v[94:95], v[82:83], v[64:65]
	;; [unrolled: 1-line block ×3, first 2 shown]
	s_delay_alu instid0(VALU_DEP_2) | instskip(SKIP_2) | instid1(VALU_DEP_2)
	v_fma_f64 v[94:95], v[94:95], -0.5, v[68:69]
	v_add_f64_e32 v[68:69], v[68:69], v[20:21]
	v_add_f64_e64 v[20:21], v[20:21], -v[8:9]
	v_add_f64_e32 v[68:69], v[68:69], v[82:83]
	v_add_f64_e64 v[82:83], v[82:83], -v[64:65]
	s_delay_alu instid0(VALU_DEP_2) | instskip(SKIP_1) | instid1(VALU_DEP_2)
	v_add_f64_e32 v[64:65], v[68:69], v[64:65]
	v_add_f64_e32 v[68:69], v[52:53], v[58:59]
	;; [unrolled: 1-line block ×3, first 2 shown]
	s_delay_alu instid0(VALU_DEP_2) | instskip(SKIP_2) | instid1(VALU_DEP_2)
	v_fma_f64 v[68:69], v[68:69], -0.5, v[50:51]
	v_add_f64_e32 v[50:51], v[50:51], v[24:25]
	v_add_f64_e64 v[24:25], v[24:25], -v[12:13]
	v_add_f64_e32 v[50:51], v[50:51], v[52:53]
	v_add_f64_e64 v[52:53], v[52:53], -v[58:59]
	s_delay_alu instid0(VALU_DEP_3) | instskip(SKIP_1) | instid1(VALU_DEP_4)
	v_fma_f64 v[6:7], v[24:25], s[0:1], v[94:95]
	v_fma_f64 v[94:95], v[24:25], s[10:11], v[94:95]
	v_add_f64_e32 v[228:229], v[50:51], v[58:59]
	v_add_f64_e32 v[50:51], v[162:163], v[26:27]
	v_add_f64_e64 v[58:59], v[136:137], -v[36:37]
	v_add_f64_e32 v[136:137], v[238:239], v[22:23]
	v_add_f64_e64 v[162:163], v[26:27], -v[14:15]
	v_fma_f64 v[26:27], v[140:141], s[0:1], v[180:181]
	v_add_f64_e64 v[22:23], v[22:23], -v[10:11]
	v_add_f64_e32 v[36:37], v[54:55], v[36:37]
	v_fma_f64 v[54:55], v[16:17], s[10:11], v[222:223]
	v_fma_f64 v[222:223], v[16:17], s[0:1], v[222:223]
	;; [unrolled: 1-line block ×6, first 2 shown]
	v_add_f64_e32 v[72:73], v[228:229], v[12:13]
	v_add_f64_e32 v[230:231], v[50:51], v[14:15]
	v_fma_f64 v[14:15], v[140:141], s[10:11], v[180:181]
	v_add_f64_e64 v[50:51], v[130:131], -v[74:75]
	v_add_f64_e32 v[10:11], v[136:137], v[10:11]
	v_fma_f64 v[130:131], v[58:59], s[0:1], v[192:193]
	v_fma_f64 v[136:137], v[58:59], s[10:11], v[192:193]
	;; [unrolled: 1-line block ×4, first 2 shown]
	v_add_f64_e32 v[74:75], v[98:99], v[74:75]
	v_fma_f64 v[98:99], v[90:91], s[0:1], v[224:225]
	v_fma_f64 v[54:55], v[90:91], s[14:15], v[54:55]
	;; [unrolled: 1-line block ×22, first 2 shown]
	v_add_f64_e32 v[32:33], v[10:11], v[32:33]
	v_add_f64_e64 v[9:10], v[76:77], -v[62:63]
	v_fma_f64 v[14:15], v[184:185], s[16:17], v[14:15]
	v_fma_f64 v[58:59], v[50:51], s[14:15], v[58:59]
	v_fma_f64 v[50:51], v[50:51], s[12:13], v[180:181]
	v_fma_f64 v[180:181], v[138:139], s[14:15], v[192:193]
	v_fma_f64 v[138:139], v[138:139], s[12:13], v[194:195]
	v_fma_f64 v[192:193], v[148:149], s[0:1], v[108:109]
	v_fma_f64 v[108:109], v[148:149], s[10:11], v[108:109]
	v_fma_f64 v[148:149], v[42:43], s[0:1], v[144:145]
	v_fma_f64 v[144:145], v[42:43], s[10:11], v[144:145]
	v_fma_f64 v[184:185], v[20:21], s[10:11], v[68:69]
	v_fma_f64 v[130:131], v[166:167], s[16:17], v[130:131]
	v_fma_f64 v[136:137], v[166:167], s[16:17], v[136:137]
	v_fma_f64 v[166:167], v[106:107], s[0:1], v[84:85]
	v_fma_f64 v[84:85], v[106:107], s[10:11], v[84:85]
	v_fma_f64 v[68:69], v[20:21], s[0:1], v[68:69]
	v_and_b32_e32 v194, 0xffff, v212
	v_fma_f64 v[146:147], v[42:43], s[12:13], v[146:147]
	v_fma_f64 v[42:43], v[42:43], s[14:15], v[142:143]
	;; [unrolled: 1-line block ×4, first 2 shown]
	v_mul_u32_u24_e32 v212, 0x1e0, v194
	v_add_f64_e64 v[194:195], v[2:3], -v[34:35]
	v_fma_f64 v[128:129], v[128:129], s[14:15], v[158:159]
	v_fma_f64 v[158:159], v[154:155], s[10:11], v[88:89]
	;; [unrolled: 1-line block ×3, first 2 shown]
	v_lshlrev_b32_e32 v2, 4, v211
	v_fma_f64 v[98:99], v[176:177], s[16:17], v[98:99]
	v_fma_f64 v[90:91], v[220:221], s[16:17], v[90:91]
	;; [unrolled: 1-line block ×4, first 2 shown]
	v_add3_u32 v2, 0, v212, v2
	v_add_f64_e32 v[34:35], v[230:231], v[34:35]
	v_add_f64_e32 v[3:4], v[156:157], v[0:1]
	v_mul_f64_e32 v[211:212], s[10:11], v[14:15]
	v_fma_f64 v[58:59], v[188:189], s[16:17], v[58:59]
	v_fma_f64 v[50:51], v[188:189], s[16:17], v[50:51]
	;; [unrolled: 1-line block ×17, first 2 shown]
	v_mul_f64_e32 v[82:83], s[18:19], v[136:137]
	v_fma_f64 v[146:147], v[172:173], s[16:17], v[146:147]
	v_fma_f64 v[172:173], v[172:173], s[16:17], v[42:43]
	;; [unrolled: 1-line block ×3, first 2 shown]
	v_add_f64_e32 v[16:17], v[132:133], v[36:37]
	v_fma_f64 v[158:159], v[106:107], s[12:13], v[158:159]
	v_fma_f64 v[88:89], v[106:107], s[14:15], v[88:89]
	v_fma_f64 v[106:107], v[30:31], s[0:1], v[28:29]
	v_fma_f64 v[28:29], v[30:31], s[10:11], v[28:29]
	v_fma_f64 v[142:143], v[30:31], s[12:13], v[142:143]
	v_fma_f64 v[30:31], v[30:31], s[14:15], v[40:41]
	v_add_f64_e32 v[11:12], v[34:35], v[64:65]
	v_mul_f64_e32 v[154:155], s[0:1], v[58:59]
	v_mul_f64_e32 v[218:219], s[16:17], v[50:51]
	v_fma_f64 v[184:185], v[20:21], s[14:15], v[188:189]
	v_fma_f64 v[20:21], v[20:21], s[12:13], v[224:225]
	v_mul_f64_e32 v[70:71], s[12:13], v[180:181]
	v_fma_f64 v[164:165], v[110:111], s[14:15], v[164:165]
	v_fma_f64 v[80:81], v[110:111], s[12:13], v[80:81]
	v_mul_f64_e32 v[110:111], s[16:17], v[26:27]
	v_mul_f64_e32 v[94:95], s[18:19], v[138:139]
	v_fma_f64 v[126:127], v[102:103], s[14:15], v[126:127]
	v_fma_f64 v[86:87], v[102:103], s[12:13], v[86:87]
	v_fma_f64 v[102:103], v[194:195], s[10:11], v[38:39]
	v_mul_f64_e32 v[188:189], s[14:15], v[130:131]
	v_fma_f64 v[224:225], v[194:195], s[0:1], v[38:39]
	v_fma_f64 v[38:39], v[46:47], s[16:17], v[152:153]
	;; [unrolled: 1-line block ×8, first 2 shown]
	v_fma_f64 v[82:83], v[138:139], s[12:13], -v[82:83]
	v_fma_f64 v[68:69], v[190:191], s[16:17], v[68:69]
	v_fma_f64 v[58:59], v[58:59], s[16:17], v[211:212]
	v_add_f64_e64 v[18:19], v[134:135], -v[74:75]
	v_mul_f64_e32 v[190:191], s[18:19], v[90:91]
	v_fma_f64 v[106:107], v[22:23], s[12:13], v[106:107]
	v_fma_f64 v[138:139], v[22:23], s[14:15], v[28:29]
	;; [unrolled: 1-line block ×13, first 2 shown]
	v_fma_f64 v[50:51], v[50:51], s[0:1], -v[110:111]
	v_fma_f64 v[108:109], v[26:27], s[10:11], -v[218:219]
	;; [unrolled: 1-line block ×3, first 2 shown]
	v_fma_f64 v[136:137], v[182:183], s[16:17], v[52:53]
	v_fma_f64 v[54:55], v[180:181], s[18:19], v[188:189]
	v_add_f64_e32 v[14:15], v[134:135], v[74:75]
	v_add_f64_e64 v[20:21], v[132:133], -v[36:37]
	v_mul_f64_e32 v[74:75], s[12:13], v[152:153]
	v_mul_f64_e32 v[132:133], s[14:15], v[148:149]
	;; [unrolled: 1-line block ×7, first 2 shown]
	v_fma_f64 v[102:103], v[162:163], s[14:15], v[102:103]
	v_fma_f64 v[110:111], v[194:195], s[14:15], v[222:223]
	;; [unrolled: 1-line block ×3, first 2 shown]
	v_mul_f64_e32 v[192:193], s[12:13], v[144:145]
	v_mul_f64_e32 v[194:195], s[14:15], v[6:7]
	;; [unrolled: 1-line block ×4, first 2 shown]
	v_add_f64_e32 v[52:53], v[100:101], v[82:83]
	v_fma_f64 v[86:87], v[160:161], s[16:17], v[86:87]
	v_fma_f64 v[92:93], v[92:93], s[14:15], -v[190:191]
	v_fma_f64 v[106:107], v[174:175], s[16:17], v[106:107]
	v_fma_f64 v[138:139], v[174:175], s[16:17], v[138:139]
	v_mul_f64_e32 v[211:212], s[0:1], v[184:185]
	v_mul_f64_e32 v[222:223], s[16:17], v[168:169]
	v_add_f64_e32 v[22:23], v[38:39], v[42:43]
	v_add_f64_e64 v[26:27], v[38:39], -v[42:43]
	v_add_f64_e32 v[38:39], v[130:131], v[58:59]
	v_add_f64_e32 v[36:37], v[70:71], v[140:141]
	v_add_f64_e64 v[40:41], v[70:71], -v[140:141]
	v_add_f64_e64 v[42:43], v[130:131], -v[58:59]
	v_add_f64_e32 v[44:45], v[56:57], v[50:51]
	v_add_f64_e32 v[46:47], v[60:61], v[108:109]
	v_add_f64_e64 v[48:49], v[56:57], -v[50:51]
	v_add_f64_e64 v[50:51], v[60:61], -v[108:109]
	;; [unrolled: 1-line block ×3, first 2 shown]
	v_fma_f64 v[60:61], v[162:163], s[12:13], v[224:225]
	v_mul_f64_e32 v[70:71], s[18:19], v[136:137]
	v_mul_f64_e32 v[82:83], s[18:19], v[68:69]
	v_add_f64_e32 v[24:25], v[150:151], v[54:55]
	v_add_f64_e64 v[28:29], v[150:151], -v[54:55]
	v_add_f64_e32 v[54:55], v[96:97], v[94:95]
	v_add_f64_e64 v[58:59], v[96:97], -v[94:95]
	v_fma_f64 v[94:95], v[104:105], s[16:17], v[158:159]
	v_fma_f64 v[96:97], v[66:67], s[16:17], v[166:167]
	;; [unrolled: 1-line block ×9, first 2 shown]
	v_fma_f64 v[78:79], v[176:177], s[0:1], -v[180:181]
	v_fma_f64 v[80:81], v[172:173], s[10:11], -v[182:183]
	;; [unrolled: 1-line block ×3, first 2 shown]
	v_fma_f64 v[132:133], v[6:7], s[18:19], v[192:193]
	v_fma_f64 v[134:135], v[144:145], s[18:19], v[194:195]
	;; [unrolled: 1-line block ×8, first 2 shown]
	v_fma_f64 v[148:149], v[168:169], s[0:1], -v[220:221]
	v_fma_f64 v[150:151], v[214:215], s[10:11], -v[222:223]
	v_add_f64_e32 v[5:6], v[76:77], v[62:63]
	ds_store_b128 v2, v[14:17]
	ds_store_b128 v2, v[22:25] offset:48
	v_fma_f64 v[152:153], v[186:187], s[16:17], v[60:61]
	v_fma_f64 v[154:155], v[68:69], s[12:13], -v[70:71]
	v_fma_f64 v[136:137], v[136:137], s[14:15], -v[82:83]
	v_add_f64_e32 v[13:14], v[32:33], v[72:73]
	v_add_f64_e64 v[24:25], v[32:33], -v[72:73]
	v_add_f64_e64 v[22:23], v[34:35], -v[64:65]
	;; [unrolled: 1-line block ×3, first 2 shown]
	v_add_f64_e32 v[30:31], v[96:97], v[74:75]
	v_add_f64_e32 v[32:33], v[100:101], v[104:105]
	v_add_f64_e64 v[60:61], v[96:97], -v[74:75]
	v_add_f64_e64 v[62:63], v[100:101], -v[104:105]
	v_add_f64_e32 v[64:65], v[94:95], v[126:127]
	v_add_f64_e32 v[66:67], v[108:109], v[98:99]
	;; [unrolled: 1-line block ×4, first 2 shown]
	v_add_f64_e64 v[76:77], v[88:89], -v[78:79]
	v_add_f64_e64 v[78:79], v[86:87], -v[80:81]
	v_add_f64_e32 v[80:81], v[84:85], v[90:91]
	v_add_f64_e32 v[82:83], v[130:131], v[92:93]
	v_add_f64_e64 v[68:69], v[94:95], -v[126:127]
	v_add_f64_e64 v[70:71], v[108:109], -v[98:99]
	;; [unrolled: 1-line block ×4, first 2 shown]
	v_add_f64_e32 v[88:89], v[106:107], v[132:133]
	v_add_f64_e32 v[90:91], v[102:103], v[134:135]
	v_and_b32_e32 v0, 0xffff, v210
	v_lshlrev_b32_e32 v1, 4, v213
	v_add_f64_e64 v[92:93], v[106:107], -v[132:133]
	v_add_f64_e64 v[94:95], v[102:103], -v[134:135]
	v_add_f64_e32 v[96:97], v[142:143], v[140:141]
	v_mul_u32_u24_e32 v0, 0x1e0, v0
	v_add_f64_e32 v[98:99], v[110:111], v[144:145]
	v_add_f64_e64 v[100:101], v[142:143], -v[140:141]
	v_add_f64_e64 v[102:103], v[110:111], -v[144:145]
	v_add_f64_e32 v[104:105], v[146:147], v[148:149]
	v_add_f64_e32 v[106:107], v[128:129], v[150:151]
	v_add_f64_e64 v[126:127], v[146:147], -v[148:149]
	v_add_f64_e64 v[128:129], v[128:129], -v[150:151]
	v_add3_u32 v0, 0, v0, v1
	v_add_f64_e32 v[108:109], v[138:139], v[154:155]
	v_add_f64_e32 v[110:111], v[152:153], v[136:137]
	v_add_f64_e64 v[130:131], v[138:139], -v[154:155]
	v_add_f64_e64 v[132:133], v[152:153], -v[136:137]
	v_mul_lo_u16 v1, 0x89, v205
	ds_store_b128 v2, v[36:39] offset:96
	ds_store_b128 v2, v[44:47] offset:144
	;; [unrolled: 1-line block ×8, first 2 shown]
	ds_store_b128 v0, v[3:6]
	ds_store_b128 v0, v[30:33] offset:48
	v_lshlrev_b32_e32 v2, 4, v209
	v_lshrrev_b16 v192, 12, v1
	v_mul_u32_u24_e32 v1, 0x1e0, v208
	ds_store_b128 v0, v[64:67] offset:96
	ds_store_b128 v0, v[72:75] offset:144
	;; [unrolled: 1-line block ×4, first 2 shown]
	v_mul_lo_u16 v3, v192, 30
	v_add3_u32 v1, 0, v1, v2
	ds_store_b128 v0, v[60:63] offset:288
	ds_store_b128 v0, v[68:71] offset:336
	;; [unrolled: 1-line block ×4, first 2 shown]
	ds_store_b128 v1, v[11:14]
	ds_store_b128 v1, v[88:91] offset:48
	v_sub_nc_u16 v2, v112, v3
	ds_store_b128 v1, v[96:99] offset:96
	ds_store_b128 v1, v[104:107] offset:144
	;; [unrolled: 1-line block ×4, first 2 shown]
	v_and_b32_e32 v193, 0xff, v2
	ds_store_b128 v1, v[92:95] offset:288
	ds_store_b128 v1, v[100:103] offset:336
	;; [unrolled: 1-line block ×4, first 2 shown]
	global_wb scope:SCOPE_SE
	s_wait_dscnt 0x0
	s_barrier_signal -1
	s_barrier_wait -1
	v_mul_u32_u24_e32 v0, 9, v193
	global_inv scope:SCOPE_SE
	v_mul_lo_u16 v1, 0x89, v206
	v_and_b32_e32 v192, 0xffff, v192
	v_lshlrev_b32_e32 v193, 4, v193
	v_lshlrev_b32_e32 v0, 4, v0
	s_clause 0x3
	global_load_b128 v[48:51], v0, s[4:5] offset:432
	global_load_b128 v[52:55], v0, s[4:5] offset:448
	;; [unrolled: 1-line block ×4, first 2 shown]
	v_lshrrev_b16 v188, 12, v1
	s_clause 0x3
	global_load_b128 v[72:75], v0, s[4:5] offset:496
	global_load_b128 v[68:71], v0, s[4:5] offset:512
	;; [unrolled: 1-line block ×4, first 2 shown]
	v_mul_lo_u16 v1, v188, 30
	global_load_b128 v[84:87], v0, s[4:5] offset:560
	v_mul_u32_u24_e32 v192, 0x12c0, v192
	v_sub_nc_u16 v1, v117, v1
	s_delay_alu instid0(VALU_DEP_1) | instskip(SKIP_1) | instid1(VALU_DEP_2)
	v_and_b32_e32 v189, 0xff, v1
	v_mul_u32_u24_e32 v1, 0x8889, v207
	v_mul_u32_u24_e32 v2, 9, v189
	s_delay_alu instid0(VALU_DEP_2) | instskip(NEXT) | instid1(VALU_DEP_2)
	v_lshrrev_b32_e32 v190, 20, v1
	v_lshlrev_b32_e32 v12, 4, v2
	global_load_b128 v[142:145], v12, s[4:5] offset:448
	v_mul_lo_u16 v0, v190, 30
	s_clause 0x2
	global_load_b128 v[146:149], v12, s[4:5] offset:480
	global_load_b128 v[156:159], v12, s[4:5] offset:512
	;; [unrolled: 1-line block ×3, first 2 shown]
	v_sub_nc_u16 v0, v125, v0
	s_delay_alu instid0(VALU_DEP_1) | instskip(NEXT) | instid1(VALU_DEP_1)
	v_and_b32_e32 v191, 0xffff, v0
	v_mul_u32_u24_e32 v0, 9, v191
	s_delay_alu instid0(VALU_DEP_1)
	v_lshlrev_b32_e32 v36, 4, v0
	s_clause 0xd
	global_load_b128 v[166:169], v36, s[4:5] offset:448
	global_load_b128 v[174:177], v36, s[4:5] offset:480
	;; [unrolled: 1-line block ×14, first 2 shown]
	ds_load_b128 v[80:83], v199
	ds_load_b128 v[88:91], v202
	;; [unrolled: 1-line block ×3, first 2 shown]
	ds_load_b128 v[96:99], v196 offset:17280
	ds_load_b128 v[44:47], v196 offset:31680
	;; [unrolled: 1-line block ×12, first 2 shown]
	s_wait_loadcnt_dscnt 0x1a0e
	v_mul_f64_e32 v[108:109], v[82:83], v[50:51]
	v_mul_f64_e32 v[50:51], v[80:81], v[50:51]
	s_wait_loadcnt_dscnt 0x190d
	v_mul_f64_e32 v[126:127], v[90:91], v[54:55]
	v_mul_f64_e32 v[54:55], v[88:89], v[54:55]
	s_wait_loadcnt_dscnt 0x180c
	v_mul_f64_e32 v[128:129], v[94:95], v[62:63]
	s_wait_loadcnt_dscnt 0x170b
	v_mul_f64_e32 v[130:131], v[98:99], v[58:59]
	v_mul_f64_e32 v[58:59], v[96:97], v[58:59]
	;; [unrolled: 1-line block ×3, first 2 shown]
	s_wait_loadcnt_dscnt 0x1609
	v_mul_f64_e32 v[132:133], v[102:103], v[74:75]
	v_mul_f64_e32 v[74:75], v[100:101], v[74:75]
	s_wait_loadcnt_dscnt 0x1508
	v_mul_f64_e32 v[134:135], v[106:107], v[70:71]
	v_mul_f64_e32 v[70:71], v[104:105], v[70:71]
	;; [unrolled: 3-line block ×5, first 2 shown]
	s_wait_loadcnt 0x10
	v_mul_f64_e32 v[186:187], v[172:173], v[148:149]
	v_mul_f64_e32 v[148:149], v[170:171], v[148:149]
	v_fma_f64 v[110:111], v[80:81], v[48:49], -v[108:109]
	v_fma_f64 v[108:109], v[82:83], v[48:49], v[50:51]
	ds_load_b128 v[48:51], v196 offset:33120
	v_mul_f64_e32 v[80:81], v[180:181], v[78:79]
	v_fma_f64 v[88:89], v[88:89], v[52:53], -v[126:127]
	v_fma_f64 v[90:91], v[90:91], v[52:53], v[54:55]
	ds_load_b128 v[225:228], v196 offset:36000
	ds_load_b128 v[52:55], v196 offset:40320
	;; [unrolled: 1-line block ×3, first 2 shown]
	v_fma_f64 v[92:93], v[92:93], v[60:61], -v[128:129]
	v_fma_f64 v[126:127], v[96:97], v[56:57], -v[130:131]
	v_fma_f64 v[128:129], v[98:99], v[56:57], v[58:59]
	ds_load_b128 v[56:59], v196 offset:37440
	s_wait_loadcnt_dscnt 0xf06
	v_mul_f64_e32 v[194:195], v[219:220], v[158:159]
	v_mul_f64_e32 v[158:159], v[217:218], v[158:159]
	;; [unrolled: 1-line block ×3, first 2 shown]
	v_fma_f64 v[94:95], v[94:95], v[60:61], v[62:63]
	v_fma_f64 v[130:131], v[100:101], v[72:73], -v[132:133]
	v_fma_f64 v[132:133], v[102:103], v[72:73], v[74:75]
	v_fma_f64 v[136:137], v[104:105], v[68:69], -v[134:135]
	v_fma_f64 v[134:135], v[106:107], v[68:69], v[70:71]
	ds_load_b128 v[60:63], v196 offset:14400
	ds_load_b128 v[68:71], v196 offset:5760
	v_fma_f64 v[140:141], v[150:151], v[64:65], -v[138:139]
	v_fma_f64 v[138:139], v[152:153], v[64:65], v[66:67]
	s_wait_loadcnt 0xc
	v_mul_f64_e32 v[237:238], v[211:212], v[176:177]
	v_mul_f64_e32 v[176:177], v[209:210], v[176:177]
	s_wait_dscnt 0x5
	v_mul_f64_e32 v[233:234], v[227:228], v[162:163]
	v_mul_f64_e32 v[162:163], v[225:226], v[162:163]
	s_wait_dscnt 0x3
	v_mul_f64_e32 v[235:236], v[231:232], v[168:169]
	v_mul_f64_e32 v[168:169], v[229:230], v[168:169]
	s_wait_loadcnt 0xb
	v_mul_f64_e32 v[239:240], v[223:224], v[207:208]
	v_fma_f64 v[104:105], v[182:183], v[84:85], -v[154:155]
	v_fma_f64 v[98:99], v[184:185], v[84:85], v[86:87]
	v_mul_f64_e32 v[207:208], v[221:222], v[207:208]
	ds_load_b128 v[72:75], v196 offset:7200
	v_fma_f64 v[96:97], v[213:214], v[142:143], -v[164:165]
	v_fma_f64 v[106:107], v[215:216], v[142:143], v[144:145]
	v_fma_f64 v[142:143], v[170:171], v[146:147], -v[186:187]
	v_fma_f64 v[144:145], v[172:173], v[146:147], v[148:149]
	s_wait_loadcnt_dscnt 0x703
	v_mul_f64_e32 v[182:183], v[58:59], v[42:43]
	s_wait_dscnt 0x2
	v_mul_f64_e32 v[154:155], v[62:63], v[6:7]
	s_wait_dscnt 0x1
	v_mul_f64_e32 v[150:151], v[70:71], v[10:11]
	v_fma_f64 v[102:103], v[178:179], v[76:77], -v[80:81]
	ds_load_b128 v[80:83], v196 offset:23040
	v_mul_f64_e32 v[152:153], v[68:69], v[10:11]
	v_mul_f64_e32 v[184:185], v[56:57], v[42:43]
	s_wait_loadcnt 0x5
	v_mul_f64_e32 v[164:165], v[54:55], v[30:31]
	v_fma_f64 v[148:149], v[217:218], v[156:157], -v[194:195]
	v_fma_f64 v[146:147], v[219:220], v[156:157], v[158:159]
	v_mul_f64_e32 v[156:157], v[60:61], v[6:7]
	v_fma_f64 v[100:101], v[180:181], v[76:77], v[78:79]
	ds_load_b128 v[84:87], v196 offset:15840
	ds_load_b128 v[76:79], v196 offset:24480
	;; [unrolled: 1-line block ×3, first 2 shown]
	s_wait_loadcnt_dscnt 0x404
	v_mul_f64_e32 v[170:171], v[72:73], v[26:27]
	s_wait_loadcnt 0x1
	v_mul_f64_e32 v[180:181], v[50:51], v[14:15]
	v_mul_f64_e32 v[14:15], v[48:49], v[14:15]
	s_wait_dscnt 0x3
	v_mul_f64_e32 v[158:159], v[82:83], v[2:3]
	v_fma_f64 v[10:11], v[225:226], v[160:161], -v[233:234]
	v_fma_f64 v[6:7], v[227:228], v[160:161], v[162:163]
	v_mul_f64_e32 v[42:43], v[80:81], v[2:3]
	v_mul_f64_e32 v[160:161], v[46:47], v[34:35]
	;; [unrolled: 1-line block ×3, first 2 shown]
	v_fma_f64 v[2:3], v[229:230], v[166:167], -v[235:236]
	v_fma_f64 v[34:35], v[231:232], v[166:167], v[168:169]
	v_mul_f64_e32 v[166:167], v[52:53], v[30:31]
	v_mul_f64_e32 v[168:169], v[74:75], v[26:27]
	v_fma_f64 v[26:27], v[209:210], v[174:175], -v[237:238]
	s_wait_dscnt 0x2
	v_mul_f64_e32 v[172:173], v[86:87], v[22:23]
	v_fma_f64 v[30:31], v[211:212], v[174:175], v[176:177]
	v_mul_f64_e32 v[174:175], v[84:85], v[22:23]
	s_wait_dscnt 0x1
	v_mul_f64_e32 v[176:177], v[78:79], v[18:19]
	v_mul_f64_e32 v[178:179], v[76:77], v[18:19]
	v_fma_f64 v[22:23], v[221:222], v[205:206], -v[239:240]
	v_fma_f64 v[18:19], v[223:224], v[205:206], v[207:208]
	v_add3_u32 v229, 0, v192, v193
	ds_load_b128 v[192:195], v196
	s_wait_loadcnt_dscnt 0x1
	v_mul_f64_e32 v[186:187], v[66:67], v[38:39]
	v_mul_f64_e32 v[38:39], v[64:65], v[38:39]
	v_fma_f64 v[205:206], v[56:57], v[40:41], -v[182:183]
	v_fma_f64 v[40:41], v[58:59], v[40:41], v[184:185]
	v_fma_f64 v[60:61], v[60:61], v[4:5], -v[154:155]
	v_fma_f64 v[68:69], v[68:69], v[8:9], -v[150:151]
	v_fma_f64 v[8:9], v[70:71], v[8:9], v[152:153]
	v_add_f64_e32 v[70:71], v[128:129], v[134:135]
	v_fma_f64 v[4:5], v[62:63], v[4:5], v[156:157]
	v_add_f64_e64 v[150:151], v[100:101], -v[134:135]
	v_add_f64_e64 v[211:212], v[96:97], -v[142:143]
	;; [unrolled: 1-line block ×3, first 2 shown]
	ds_load_b128 v[56:59], v203
	ds_load_b128 v[182:185], v204
	v_fma_f64 v[48:49], v[48:49], v[12:13], -v[180:181]
	v_fma_f64 v[12:13], v[50:51], v[12:13], v[14:15]
	v_add_f64_e64 v[180:181], v[132:133], -v[94:95]
	global_wb scope:SCOPE_SE
	s_wait_dscnt 0x0
	s_barrier_signal -1
	v_fma_f64 v[62:63], v[80:81], v[0:1], -v[158:159]
	v_add_f64_e32 v[80:81], v[96:97], v[10:11]
	v_add_f64_e64 v[213:214], v[10:11], -v[148:149]
	v_fma_f64 v[0:1], v[82:83], v[0:1], v[42:43]
	v_fma_f64 v[42:43], v[44:45], v[32:33], -v[160:161]
	v_fma_f64 v[32:33], v[46:47], v[32:33], v[162:163]
	v_fma_f64 v[44:45], v[52:53], v[28:29], -v[164:165]
	v_add_f64_e32 v[82:83], v[144:145], v[146:147]
	v_fma_f64 v[28:29], v[54:55], v[28:29], v[166:167]
	v_fma_f64 v[46:47], v[72:73], v[24:25], -v[168:169]
	v_fma_f64 v[24:25], v[74:75], v[24:25], v[170:171]
	v_fma_f64 v[52:53], v[84:85], v[20:21], -v[172:173]
	v_add_f64_e32 v[72:73], v[90:91], v[100:101]
	v_fma_f64 v[20:21], v[86:87], v[20:21], v[174:175]
	v_fma_f64 v[54:55], v[76:77], v[16:17], -v[176:177]
	v_fma_f64 v[16:17], v[78:79], v[16:17], v[178:179]
	v_add_f64_e64 v[74:75], v[88:89], -v[126:127]
	v_add_f64_e64 v[76:77], v[102:103], -v[136:137]
	v_add_f64_e32 v[78:79], v[142:143], v[148:149]
	v_add_f64_e32 v[84:85], v[106:107], v[6:7]
	v_fma_f64 v[14:15], v[64:65], v[36:37], -v[186:187]
	v_fma_f64 v[36:37], v[66:67], v[36:37], v[38:39]
	v_add_f64_e32 v[64:65], v[126:127], v[136:137]
	v_add_f64_e32 v[66:67], v[88:89], v[102:103]
	v_add_f64_e64 v[86:87], v[90:91], -v[128:129]
	v_add_f64_e32 v[152:153], v[26:27], v[22:23]
	v_add_f64_e32 v[154:155], v[2:3], v[205:206]
	;; [unrolled: 1-line block ×4, first 2 shown]
	v_add_f64_e64 v[160:161], v[92:93], -v[130:131]
	v_add_f64_e64 v[162:163], v[104:105], -v[140:141]
	;; [unrolled: 1-line block ×14, first 2 shown]
	v_add_f64_e32 v[38:39], v[192:193], v[88:89]
	v_add_f64_e64 v[221:222], v[44:45], -v[42:43]
	v_add_f64_e32 v[50:51], v[194:195], v[90:91]
	v_add_f64_e64 v[225:226], v[28:29], -v[32:33]
	v_add_f64_e32 v[207:208], v[56:57], v[96:97]
	v_add_f64_e32 v[209:210], v[58:59], v[106:107]
	v_fma_f64 v[70:71], v[70:71], -0.5, v[194:195]
	v_fma_f64 v[72:73], v[72:73], -0.5, v[194:195]
	v_add_f64_e32 v[194:195], v[184:185], v[34:35]
	v_add_f64_e32 v[211:212], v[211:212], v[213:214]
	v_add_f64_e64 v[213:214], v[52:53], -v[54:55]
	v_add_f64_e64 v[90:91], v[90:91], -v[100:101]
	v_add_f64_e32 v[74:75], v[74:75], v[76:77]
	v_fma_f64 v[78:79], v[78:79], -0.5, v[56:57]
	v_fma_f64 v[56:57], v[80:81], -0.5, v[56:57]
	;; [unrolled: 1-line block ×6, first 2 shown]
	v_add_f64_e32 v[192:193], v[182:183], v[2:3]
	v_add_f64_e64 v[82:83], v[142:143], -v[96:97]
	v_add_f64_e64 v[84:85], v[148:149], -v[10:11]
	v_fma_f64 v[152:153], v[152:153], -0.5, v[182:183]
	v_fma_f64 v[154:155], v[154:155], -0.5, v[182:183]
	v_fma_f64 v[156:157], v[156:157], -0.5, v[184:185]
	v_fma_f64 v[158:159], v[158:159], -0.5, v[184:185]
	v_add_f64_e64 v[182:183], v[144:145], -v[106:107]
	v_add_f64_e64 v[184:185], v[146:147], -v[6:7]
	;; [unrolled: 1-line block ×3, first 2 shown]
	v_add_f64_e32 v[86:87], v[86:87], v[150:151]
	v_add_f64_e64 v[150:151], v[42:43], -v[44:45]
	v_add_f64_e32 v[160:161], v[160:161], v[162:163]
	v_add_f64_e64 v[162:163], v[0:1], -v[4:5]
	;; [unrolled: 2-line block ×10, first 2 shown]
	v_add_f64_e32 v[38:39], v[38:39], v[126:127]
	v_add_f64_e32 v[50:51], v[50:51], v[128:129]
	v_add_f64_e64 v[126:127], v[126:127], -v[136:137]
	v_add_f64_e64 v[128:129], v[128:129], -v[134:135]
	v_add_f64_e32 v[207:208], v[207:208], v[142:143]
	v_add_f64_e32 v[209:210], v[209:210], v[144:145]
	v_add_f64_e64 v[142:143], v[142:143], -v[148:149]
	v_add_f64_e64 v[144:145], v[144:145], -v[146:147]
	v_add_f64_e32 v[192:193], v[192:193], v[26:27]
	v_add_f64_e32 v[194:195], v[194:195], v[30:31]
	;; [unrolled: 1-line block ×3, first 2 shown]
	v_add_f64_e64 v[84:85], v[26:27], -v[2:3]
	v_add_f64_e64 v[88:89], v[88:89], -v[102:103]
	v_add_f64_e64 v[26:27], v[26:27], -v[22:23]
	v_add_f64_e64 v[106:107], v[106:107], -v[6:7]
	v_add_f64_e64 v[96:97], v[96:97], -v[10:11]
	v_add_f64_e32 v[182:183], v[182:183], v[184:185]
	v_add_f64_e64 v[184:185], v[22:23], -v[205:206]
	v_add_f64_e64 v[2:3], v[2:3], -v[205:206]
	v_add_f64_e32 v[76:77], v[76:77], v[150:151]
	v_add_f64_e64 v[150:151], v[30:31], -v[34:35]
	v_add_f64_e64 v[30:31], v[30:31], -v[18:19]
	;; [unrolled: 1-line block ×3, first 2 shown]
	v_add_f64_e32 v[162:163], v[162:163], v[176:177]
	v_add_f64_e64 v[176:177], v[18:19], -v[40:41]
	s_barrier_wait -1
	global_inv scope:SCOPE_SE
	v_add_f64_e32 v[168:169], v[168:169], v[172:173]
	v_add_f64_e64 v[172:173], v[54:55], -v[52:53]
	v_add_f64_e32 v[178:179], v[178:179], v[186:187]
	v_add_f64_e64 v[186:187], v[48:49], -v[14:15]
	;; [unrolled: 2-line block ×4, first 2 shown]
	v_add_f64_e32 v[38:39], v[38:39], v[136:137]
	v_add_f64_e32 v[136:137], v[62:63], v[42:43]
	;; [unrolled: 1-line block ×9, first 2 shown]
	v_fma_f64 v[192:193], v[128:129], s[10:11], v[66:67]
	v_fma_f64 v[66:67], v[128:129], s[0:1], v[66:67]
	v_add_f64_e32 v[18:19], v[194:195], v[18:19]
	v_fma_f64 v[194:195], v[126:127], s[0:1], v[72:73]
	v_fma_f64 v[72:73], v[126:127], s[10:11], v[72:73]
	v_add_f64_e32 v[84:85], v[84:85], v[184:185]
	v_add_f64_e32 v[184:185], v[130:131], v[140:141]
	;; [unrolled: 1-line block ×8, first 2 shown]
	v_fma_f64 v[136:137], v[136:137], -0.5, v[68:69]
	v_add_f64_e32 v[38:39], v[38:39], v[102:103]
	v_fma_f64 v[134:135], v[134:135], -0.5, v[68:69]
	v_add_f64_e32 v[68:69], v[68:69], v[60:61]
	v_fma_f64 v[207:208], v[207:208], -0.5, v[46:47]
	v_add_f64_e64 v[60:61], v[60:61], -v[44:45]
	v_fma_f64 v[209:210], v[209:210], -0.5, v[46:47]
	v_add_f64_e32 v[46:47], v[46:47], v[52:53]
	v_add_f64_e32 v[50:51], v[50:51], v[100:101]
	v_add_f64_e64 v[52:53], v[52:53], -v[14:15]
	v_fma_f64 v[192:193], v[90:91], s[12:13], v[192:193]
	v_fma_f64 v[66:67], v[90:91], s[14:15], v[66:67]
	;; [unrolled: 1-line block ×4, first 2 shown]
	v_add_f64_e32 v[148:149], v[148:149], v[10:11]
	v_add_f64_e32 v[146:147], v[146:147], v[6:7]
	v_fma_f64 v[184:185], v[184:185], -0.5, v[110:111]
	v_add_f64_e32 v[205:206], v[22:23], v[205:206]
	v_fma_f64 v[176:177], v[176:177], -0.5, v[110:111]
	v_add_f64_e32 v[110:111], v[110:111], v[92:93]
	v_add_f64_e64 v[92:93], v[92:93], -v[104:105]
	v_fma_f64 v[186:187], v[186:187], -0.5, v[108:109]
	v_fma_f64 v[225:226], v[225:226], -0.5, v[108:109]
	v_add_f64_e32 v[108:109], v[108:109], v[94:95]
	v_add_f64_e64 v[94:95], v[94:95], -v[98:99]
	v_add_f64_e32 v[68:69], v[68:69], v[62:63]
	v_add_f64_e64 v[62:63], v[62:63], -v[42:43]
	;; [unrolled: 2-line block ×4, first 2 shown]
	v_fma_f64 v[100:101], v[92:93], s[10:11], v[186:187]
	v_fma_f64 v[186:187], v[92:93], s[0:1], v[186:187]
	v_add_f64_e32 v[108:109], v[108:109], v[132:133]
	v_add_f64_e64 v[132:133], v[132:133], -v[138:139]
	v_fma_f64 v[102:103], v[94:95], s[0:1], v[184:185]
	v_add_f64_e32 v[42:43], v[68:69], v[42:43]
	v_add_f64_e32 v[68:69], v[16:17], v[12:13]
	v_fma_f64 v[184:185], v[94:95], s[10:11], v[184:185]
	v_add_f64_e32 v[46:47], v[46:47], v[48:49]
	v_add_f64_e32 v[110:111], v[110:111], v[140:141]
	;; [unrolled: 1-line block ×3, first 2 shown]
	v_fma_f64 v[100:101], v[130:131], s[14:15], v[100:101]
	v_add_f64_e32 v[108:109], v[108:109], v[138:139]
	v_add_f64_e32 v[138:139], v[4:5], v[28:29]
	v_fma_f64 v[48:49], v[132:133], s[10:11], v[176:177]
	v_fma_f64 v[176:177], v[132:133], s[0:1], v[176:177]
	v_fma_f64 v[68:69], v[68:69], -0.5, v[24:25]
	v_fma_f64 v[102:103], v[132:133], s[12:13], v[102:103]
	v_add_f64_e32 v[44:45], v[42:43], v[44:45]
	v_fma_f64 v[132:133], v[132:133], s[14:15], v[184:185]
	v_fma_f64 v[184:185], v[144:145], s[10:11], v[56:57]
	;; [unrolled: 1-line block ×3, first 2 shown]
	v_add_f64_e32 v[104:105], v[110:111], v[104:105]
	v_fma_f64 v[140:141], v[140:141], -0.5, v[8:9]
	v_fma_f64 v[110:111], v[90:91], s[0:1], v[64:65]
	v_fma_f64 v[64:65], v[90:91], s[10:11], v[64:65]
	;; [unrolled: 1-line block ×3, first 2 shown]
	v_add_f64_e32 v[98:99], v[108:109], v[98:99]
	v_fma_f64 v[138:139], v[138:139], -0.5, v[8:9]
	v_add_f64_e32 v[8:9], v[8:9], v[4:5]
	v_add_f64_e64 v[4:5], v[4:5], -v[28:29]
	v_fma_f64 v[108:109], v[88:89], s[10:11], v[70:71]
	v_fma_f64 v[70:71], v[88:89], s[0:1], v[70:71]
	;; [unrolled: 1-line block ×14, first 2 shown]
	v_add_f64_e32 v[8:9], v[8:9], v[0:1]
	v_add_f64_e64 v[0:1], v[0:1], -v[32:33]
	v_fma_f64 v[138:139], v[62:63], s[10:11], v[138:139]
	v_fma_f64 v[108:109], v[126:127], s[14:15], v[108:109]
	;; [unrolled: 1-line block ×10, first 2 shown]
	v_add_f64_e32 v[8:9], v[8:9], v[32:33]
	v_add_f64_e32 v[32:33], v[20:21], v[36:37]
	v_fma_f64 v[90:91], v[0:1], s[10:11], v[134:135]
	v_fma_f64 v[134:135], v[0:1], s[0:1], v[134:135]
	;; [unrolled: 1-line block ×11, first 2 shown]
	v_add_f64_e32 v[227:228], v[8:9], v[28:29]
	v_fma_f64 v[32:33], v[32:33], -0.5, v[24:25]
	v_add_f64_e32 v[24:25], v[24:25], v[20:21]
	v_add_f64_e64 v[20:21], v[20:21], -v[36:37]
	v_fma_f64 v[28:29], v[4:5], s[12:13], v[90:91]
	v_fma_f64 v[90:91], v[30:31], s[10:11], v[154:155]
	v_fma_f64 v[60:61], v[162:163], s[16:17], v[60:61]
	v_fma_f64 v[62:63], v[223:224], s[16:17], v[62:63]
	v_fma_f64 v[152:153], v[30:31], s[14:15], v[152:153]
	v_fma_f64 v[140:141], v[26:27], s[14:15], v[140:141]
	v_fma_f64 v[156:157], v[26:27], s[12:13], v[156:157]
	v_fma_f64 v[8:9], v[54:55], s[0:1], v[32:33]
	v_add_f64_e32 v[24:25], v[24:25], v[16:17]
	v_add_f64_e64 v[16:17], v[16:17], -v[12:13]
	v_fma_f64 v[42:43], v[20:21], s[0:1], v[207:208]
	v_fma_f64 v[32:33], v[54:55], s[10:11], v[32:33]
	;; [unrolled: 1-line block ×8, first 2 shown]
	v_add_f64_e32 v[12:13], v[24:25], v[12:13]
	v_fma_f64 v[24:25], v[130:131], s[0:1], v[225:226]
	v_fma_f64 v[225:226], v[130:131], s[10:11], v[225:226]
	;; [unrolled: 1-line block ×29, first 2 shown]
	v_add_f64_e32 v[225:226], v[18:19], v[40:41]
	v_fma_f64 v[18:19], v[174:175], s[16:17], v[94:95]
	v_add_f64_e32 v[92:93], v[46:47], v[14:15]
	v_fma_f64 v[14:15], v[164:165], s[16:17], v[130:131]
	;; [unrolled: 2-line block ×3, first 2 shown]
	v_fma_f64 v[76:77], v[76:77], s[16:17], v[4:5]
	v_fma_f64 v[36:37], v[106:107], s[12:13], v[184:185]
	;; [unrolled: 1-line block ×7, first 2 shown]
	v_mul_f64_e32 v[126:127], s[12:13], v[100:101]
	v_mul_f64_e32 v[128:129], s[14:15], v[102:103]
	v_fma_f64 v[130:131], v[34:35], s[14:15], v[134:135]
	v_mul_f64_e32 v[132:133], s[10:11], v[48:49]
	v_add_f64_e64 v[4:5], v[38:39], -v[104:105]
	v_fma_f64 v[160:161], v[172:173], s[16:17], v[10:11]
	v_fma_f64 v[144:145], v[30:31], s[12:13], v[176:177]
	;; [unrolled: 1-line block ×3, first 2 shown]
	v_mul_f64_e32 v[110:111], s[16:17], v[60:61]
	v_mul_f64_e32 v[164:165], s[18:19], v[62:63]
	v_fma_f64 v[174:175], v[215:216], s[16:17], v[80:81]
	v_mul_f64_e32 v[176:177], s[18:19], v[52:53]
	v_mul_f64_e32 v[34:35], s[0:1], v[24:25]
	;; [unrolled: 1-line block ×3, first 2 shown]
	v_fma_f64 v[68:69], v[219:220], s[16:17], v[154:155]
	v_fma_f64 v[106:107], v[219:220], s[16:17], v[0:1]
	;; [unrolled: 1-line block ×4, first 2 shown]
	v_add_f64_e32 v[0:1], v[38:39], v[104:105]
	v_mul_f64_e32 v[138:139], s[16:17], v[18:19]
	v_fma_f64 v[158:159], v[221:222], s[16:17], v[6:7]
	v_mul_f64_e32 v[154:155], s[18:19], v[14:15]
	v_fma_f64 v[104:105], v[217:218], s[16:17], v[8:9]
	v_add_f64_e32 v[2:3], v[50:51], v[98:99]
	v_add_f64_e64 v[6:7], v[50:51], -v[98:99]
	v_fma_f64 v[50:51], v[172:173], s[16:17], v[20:21]
	v_fma_f64 v[98:99], v[217:218], s[16:17], v[32:33]
	;; [unrolled: 1-line block ×4, first 2 shown]
	v_mul_f64_e32 v[30:31], s[18:19], v[12:13]
	v_mul_f64_e32 v[8:9], s[12:13], v[54:55]
	;; [unrolled: 1-line block ×5, first 2 shown]
	v_fma_f64 v[102:103], v[102:103], s[18:19], v[126:127]
	v_fma_f64 v[100:101], v[100:101], s[18:19], v[128:129]
	;; [unrolled: 1-line block ×7, first 2 shown]
	v_fma_f64 v[110:111], v[76:77], s[10:11], -v[110:111]
	v_fma_f64 v[34:35], v[48:49], s[16:17], v[34:35]
	v_fma_f64 v[48:49], v[166:167], s[16:17], v[66:67]
	v_mul_f64_e32 v[10:11], s[14:15], v[68:69]
	v_mul_f64_e32 v[162:163], s[18:19], v[106:107]
	v_fma_f64 v[66:67], v[170:171], s[16:17], v[72:73]
	v_fma_f64 v[132:133], v[18:19], s[10:11], -v[142:143]
	v_fma_f64 v[142:143], v[82:83], s[16:17], v[36:37]
	v_fma_f64 v[72:73], v[22:23], s[0:1], -v[138:139]
	;; [unrolled: 2-line block ×3, first 2 shown]
	v_mul_f64_e32 v[58:59], s[12:13], v[158:159]
	v_mul_f64_e32 v[154:155], s[14:15], v[42:43]
	v_fma_f64 v[166:167], v[182:183], s[16:17], v[46:47]
	v_fma_f64 v[82:83], v[82:83], s[16:17], v[40:41]
	v_mul_f64_e32 v[40:41], s[0:1], v[104:105]
	v_mul_f64_e32 v[46:47], s[10:11], v[160:161]
	v_fma_f64 v[170:171], v[182:183], s[16:17], v[56:57]
	v_mul_f64_e32 v[56:57], s[16:17], v[50:51]
	v_mul_f64_e32 v[78:79], s[16:17], v[98:99]
	;; [unrolled: 1-line block ×3, first 2 shown]
	v_fma_f64 v[74:75], v[14:15], s[12:13], -v[30:31]
	v_fma_f64 v[68:69], v[68:69], s[18:19], v[8:9]
	v_fma_f64 v[182:183], v[28:29], s[16:17], v[16:17]
	;; [unrolled: 1-line block ×3, first 2 shown]
	v_fma_f64 v[184:185], v[60:61], s[0:1], -v[32:33]
	v_fma_f64 v[106:107], v[106:107], s[14:15], -v[164:165]
	v_add_f64_e32 v[8:9], v[26:27], v[102:103]
	v_add_f64_e64 v[12:13], v[26:27], -v[102:103]
	v_add_f64_e64 v[14:15], v[38:39], -v[100:101]
	v_add_f64_e32 v[18:19], v[128:129], v[24:25]
	v_add_f64_e64 v[22:23], v[128:129], -v[24:25]
	v_fma_f64 v[128:129], v[178:179], s[16:17], v[140:141]
	v_fma_f64 v[134:135], v[150:151], s[16:17], v[134:135]
	;; [unrolled: 1-line block ×3, first 2 shown]
	v_add_f64_e32 v[16:17], v[126:127], v[34:35]
	v_add_f64_e64 v[20:21], v[126:127], -v[34:35]
	v_fma_f64 v[180:181], v[54:55], s[18:19], v[10:11]
	v_fma_f64 v[162:163], v[62:63], s[12:13], -v[162:163]
	v_add_f64_e32 v[10:11], v[38:39], v[100:101]
	v_add_f64_e32 v[26:27], v[66:67], v[132:133]
	v_add_f64_e64 v[30:31], v[66:67], -v[132:133]
	v_fma_f64 v[126:127], v[168:169], s[16:17], v[144:145]
	v_fma_f64 v[144:145], v[84:85], s[16:17], v[130:131]
	v_add_f64_e32 v[24:25], v[48:49], v[72:73]
	v_fma_f64 v[100:101], v[42:43], s[18:19], v[58:59]
	v_fma_f64 v[102:103], v[158:159], s[18:19], v[154:155]
	v_add_f64_e64 v[28:29], v[48:49], -v[72:73]
	v_add_f64_e32 v[34:35], v[70:71], v[86:87]
	v_fma_f64 v[132:133], v[160:161], s[16:17], v[40:41]
	v_fma_f64 v[140:141], v[104:105], s[16:17], v[46:47]
	;; [unrolled: 1-line block ×3, first 2 shown]
	v_fma_f64 v[150:151], v[98:99], s[0:1], -v[56:57]
	v_fma_f64 v[154:155], v[50:51], s[10:11], -v[78:79]
	;; [unrolled: 1-line block ×4, first 2 shown]
	v_add_f64_e32 v[32:33], v[64:65], v[74:75]
	v_add_f64_e64 v[36:37], v[64:65], -v[74:75]
	v_add_f64_e64 v[60:61], v[138:139], -v[68:69]
	v_add_f64_e32 v[64:65], v[142:143], v[182:183]
	v_add_f64_e32 v[66:67], v[166:167], v[88:89]
	v_add_f64_e64 v[38:39], v[70:71], -v[86:87]
	v_add_f64_e32 v[56:57], v[138:139], v[68:69]
	v_add_f64_e64 v[68:69], v[142:143], -v[182:183]
	v_add_f64_e64 v[70:71], v[166:167], -v[88:89]
	v_add_f64_e32 v[72:73], v[82:83], v[184:185]
	v_add_f64_e32 v[74:75], v[170:171], v[110:111]
	v_add_f64_e64 v[76:77], v[82:83], -v[184:185]
	v_add_f64_e64 v[78:79], v[170:171], -v[110:111]
	v_add_f64_e32 v[82:83], v[174:175], v[106:107]
	;; [unrolled: 4-line block ×3, first 2 shown]
	v_add_f64_e32 v[50:51], v[225:226], v[94:95]
	v_add_f64_e64 v[62:63], v[96:97], -v[180:181]
	v_add_f64_e32 v[80:81], v[172:173], v[162:163]
	v_add_f64_e64 v[52:53], v[205:206], -v[92:93]
	v_add_f64_e64 v[54:55], v[225:226], -v[94:95]
	v_add_f64_e32 v[58:59], v[96:97], v[180:181]
	v_add_f64_e64 v[84:85], v[172:173], -v[162:163]
	;; [unrolled: 3-line block ×3, first 2 shown]
	v_add_f64_e64 v[94:95], v[128:129], -v[102:103]
	v_add_f64_e32 v[88:89], v[126:127], v[100:101]
	v_add_f64_e32 v[90:91], v[128:129], v[102:103]
	v_and_b32_e32 v100, 0xffff, v188
	v_add_f64_e32 v[98:99], v[134:135], v[140:141]
	v_add_f64_e32 v[96:97], v[104:105], v[132:133]
	v_add_f64_e64 v[105:106], v[104:105], -v[132:133]
	v_add_f64_e32 v[126:127], v[144:145], v[150:151]
	v_add_f64_e32 v[128:129], v[136:137], v[154:155]
	v_add_f64_e64 v[107:108], v[134:135], -v[140:141]
	v_add_f64_e32 v[130:131], v[152:153], v[158:159]
	v_add_f64_e32 v[132:133], v[156:157], v[160:161]
	v_add_f64_e64 v[134:135], v[144:145], -v[150:151]
	v_add_f64_e64 v[136:137], v[136:137], -v[154:155]
	v_add_f64_e64 v[138:139], v[152:153], -v[158:159]
	v_add_f64_e64 v[140:141], v[156:157], -v[160:161]
	ds_store_b128 v229, v[0:3]
	ds_store_b128 v229, v[8:11] offset:480
	v_mul_u32_u24_e32 v0, 0x12c0, v100
	v_lshlrev_b32_e32 v1, 4, v189
	v_lshlrev_b32_e32 v2, 4, v191
	v_dual_mov_b32 v104, 0 :: v_dual_lshlrev_b32 v103, 1, v112
	ds_store_b128 v229, v[16:19] offset:960
	ds_store_b128 v229, v[24:27] offset:1440
	;; [unrolled: 1-line block ×4, first 2 shown]
	v_add3_u32 v0, 0, v0, v1
	v_mul_u32_u24_e32 v1, 0x12c0, v190
	ds_store_b128 v229, v[12:15] offset:2880
	ds_store_b128 v229, v[20:23] offset:3360
	;; [unrolled: 1-line block ×4, first 2 shown]
	ds_store_b128 v0, v[40:43]
	ds_store_b128 v0, v[56:59] offset:480
	v_add3_u32 v2, 0, v1, v2
	ds_store_b128 v0, v[64:67] offset:960
	ds_store_b128 v0, v[72:75] offset:1440
	;; [unrolled: 1-line block ×8, first 2 shown]
	ds_store_b128 v2, v[48:51]
	ds_store_b128 v2, v[88:91] offset:480
	v_lshlrev_b64_e32 v[0:1], 4, v[103:104]
	ds_store_b128 v2, v[96:99] offset:960
	ds_store_b128 v2, v[126:129] offset:1440
	ds_store_b128 v2, v[130:133] offset:1920
	ds_store_b128 v2, v[52:55] offset:2400
	ds_store_b128 v2, v[92:95] offset:2880
	ds_store_b128 v2, v[105:108] offset:3360
	ds_store_b128 v2, v[134:137] offset:3840
	ds_store_b128 v2, v[138:141] offset:4320
	v_dual_mov_b32 v3, v104 :: v_dual_lshlrev_b32 v2, 1, v117
	v_add_co_u32 v107, s0, s4, v0
	s_wait_alu 0xf1ff
	v_add_co_ci_u32_e64 v108, s0, s5, v1, s0
	s_delay_alu instid0(VALU_DEP_3)
	v_lshlrev_b64_e32 v[0:1], 4, v[2:3]
	v_subrev_nc_u32_e32 v4, 30, v112
	v_cmp_gt_u32_e64 s0, 30, v112
	v_lshlrev_b32_e32 v2, 1, v125
	global_wb scope:SCOPE_SE
	s_wait_dscnt 0x0
	s_barrier_signal -1
	s_barrier_wait -1
	s_wait_alu 0xf1ff
	v_cndmask_b32_e64 v135, v4, v124, s0
	v_add_co_u32 v109, s0, s4, v0
	s_wait_alu 0xf1ff
	v_add_co_ci_u32_e64 v110, s0, s5, v1, s0
	global_inv scope:SCOPE_SE
	v_lshlrev_b64_e32 v[16:17], 4, v[2:3]
	s_clause 0x3
	global_load_b128 v[12:15], v[107:108], off offset:4752
	global_load_b128 v[8:11], v[107:108], off offset:4768
	;; [unrolled: 1-line block ×4, first 2 shown]
	v_dual_mov_b32 v19, v104 :: v_dual_lshlrev_b32 v18, 1, v135
	v_lshrrev_b16 v28, 2, v121
	v_lshrrev_b16 v29, 2, v120
	v_add_co_u32 v105, s0, s4, v16
	s_delay_alu instid0(VALU_DEP_4) | instskip(SKIP_4) | instid1(VALU_DEP_4)
	v_lshlrev_b64_e32 v[18:19], 4, v[18:19]
	s_wait_alu 0xf1ff
	v_add_co_ci_u32_e64 v106, s0, s5, v17, s0
	v_and_b32_e32 v28, 0xffff, v28
	v_dual_mov_b32 v25, v104 :: v_dual_add_nc_u32 v24, 0x78, v103
	v_add_co_u32 v26, s0, s4, v18
	s_wait_alu 0xf1ff
	v_add_co_ci_u32_e64 v27, s0, s5, v19, s0
	s_clause 0x3
	global_load_b128 v[20:23], v[105:106], off offset:4752
	global_load_b128 v[16:19], v[105:106], off offset:4768
	;; [unrolled: 1-line block ×4, first 2 shown]
	v_mul_u32_u24_e32 v26, 0x6d3b, v28
	v_and_b32_e32 v27, 0xffff, v29
	v_lshrrev_b16 v28, 2, v119
	v_add_nc_u32_e32 v103, 0x12c, v103
	v_lshlrev_b64_e32 v[24:25], 4, v[24:25]
	v_lshrrev_b32_e32 v136, 21, v26
	v_mul_u32_u24_e32 v26, 0x6d3b, v27
	v_and_b32_e32 v27, 0xffff, v28
	v_lshrrev_b16 v28, 2, v116
	v_lshlrev_b64_e32 v[32:33], 4, v[103:104]
	v_mul_lo_u16 v34, 0x12c, v136
	v_lshrrev_b32_e32 v35, 21, v26
	v_mul_u32_u24_e32 v36, 0x6d3b, v27
	v_and_b32_e32 v37, 0xffff, v28
	v_add_co_u32 v24, s0, s4, v24
	s_delay_alu instid0(VALU_DEP_4) | instskip(NEXT) | instid1(VALU_DEP_4)
	v_mul_lo_u16 v35, 0x12c, v35
	v_lshrrev_b32_e32 v36, 21, v36
	s_delay_alu instid0(VALU_DEP_4)
	v_mul_u32_u24_e32 v37, 0x6d3b, v37
	v_sub_nc_u16 v34, v121, v34
	s_wait_alu 0xf1ff
	v_add_co_ci_u32_e64 v25, s0, s5, v25, s0
	v_mul_lo_u16 v41, 0x12c, v36
	v_lshrrev_b32_e32 v42, 21, v37
	v_sub_nc_u16 v40, v120, v35
	v_add_co_u32 v32, s0, s4, v32
	s_delay_alu instid0(VALU_DEP_4) | instskip(NEXT) | instid1(VALU_DEP_4)
	v_sub_nc_u16 v45, v119, v41
	v_mul_lo_u16 v46, 0x12c, v42
	v_and_b32_e32 v137, 0xffff, v34
	s_wait_alu 0xf1ff
	v_add_co_ci_u32_e64 v33, s0, s5, v33, s0
	v_and_b32_e32 v134, 0xffff, v40
	v_sub_nc_u16 v53, v116, v46
	v_and_b32_e32 v133, 0xffff, v45
	s_clause 0x1
	global_load_b128 v[28:31], v[24:25], off offset:4752
	global_load_b128 v[24:27], v[24:25], off offset:4768
	v_lshlrev_b32_e32 v44, 5, v137
	s_clause 0x1
	global_load_b128 v[36:39], v[32:33], off offset:4752
	global_load_b128 v[32:35], v[32:33], off offset:4768
	v_lshlrev_b32_e32 v52, 5, v134
	v_and_b32_e32 v132, 0xffff, v53
	v_lshlrev_b32_e32 v60, 5, v133
	s_clause 0x4
	global_load_b128 v[40:43], v44, s[4:5] offset:4752
	global_load_b128 v[48:51], v44, s[4:5] offset:4768
	;; [unrolled: 1-line block ×5, first 2 shown]
	v_lshlrev_b32_e32 v76, 5, v132
	s_clause 0x2
	global_load_b128 v[60:63], v60, s[4:5] offset:4768
	global_load_b128 v[68:71], v76, s[4:5] offset:4752
	global_load_b128 v[76:79], v76, s[4:5] offset:4768
	ds_load_b128 v[100:103], v196 offset:14400
	ds_load_b128 v[96:99], v196 offset:28800
	;; [unrolled: 1-line block ×13, first 2 shown]
	ds_load_b128 v[166:169], v199
	ds_load_b128 v[170:173], v196 offset:23040
	ds_load_b128 v[174:177], v196 offset:24480
	;; [unrolled: 1-line block ×6, first 2 shown]
	v_cmp_lt_u32_e64 s0, 29, v112
	v_lshlrev_b32_e32 v135, 4, v135
	v_mul_u32_u24_e32 v242, 0x3840, v136
	v_lshl_add_u32 v111, v123, 4, 0
	v_lshlrev_b32_e32 v243, 4, v137
	s_wait_alu 0xf1ff
	v_cndmask_b32_e64 v229, 0, 0x3840, s0
	s_mov_b32 s1, exec_lo
	s_delay_alu instid0(VALU_DEP_1)
	v_add3_u32 v241, 0, v229, v135
	s_wait_loadcnt_dscnt 0x1313
	v_mul_f64_e32 v[126:127], v[102:103], v[14:15]
	v_mul_f64_e32 v[14:15], v[100:101], v[14:15]
	s_wait_loadcnt_dscnt 0x1212
	v_mul_f64_e32 v[128:129], v[98:99], v[10:11]
	v_mul_f64_e32 v[130:131], v[96:97], v[10:11]
	s_wait_loadcnt_dscnt 0x1111
	v_mul_f64_e32 v[10:11], v[94:95], v[6:7]
	s_wait_loadcnt_dscnt 0x1010
	v_mul_f64_e32 v[194:195], v[90:91], v[2:3]
	v_mul_f64_e32 v[6:7], v[92:93], v[6:7]
	;; [unrolled: 1-line block ×3, first 2 shown]
	s_wait_loadcnt_dscnt 0xf0f
	v_mul_f64_e32 v[205:206], v[86:87], v[22:23]
	s_wait_loadcnt_dscnt 0xe0d
	v_mul_f64_e32 v[207:208], v[82:83], v[18:19]
	v_mul_f64_e32 v[22:23], v[84:85], v[22:23]
	s_wait_loadcnt 0xd
	v_mul_f64_e32 v[209:210], v[140:141], v[74:75]
	v_mul_f64_e32 v[74:75], v[138:139], v[74:75]
	;; [unrolled: 1-line block ×3, first 2 shown]
	v_fma_f64 v[100:101], v[100:101], v[12:13], -v[126:127]
	s_wait_loadcnt_dscnt 0xc0c
	v_mul_f64_e32 v[126:127], v[144:145], v[66:67]
	v_fma_f64 v[102:103], v[102:103], v[12:13], v[14:15]
	v_fma_f64 v[128:129], v[96:97], v[8:9], -v[128:129]
	v_fma_f64 v[130:131], v[98:99], v[8:9], v[130:131]
	ds_load_b128 v[12:15], v196 offset:41760
	ds_load_b128 v[96:99], v196
	v_mul_f64_e32 v[66:67], v[142:143], v[66:67]
	v_fma_f64 v[92:93], v[92:93], v[4:5], -v[10:11]
	v_fma_f64 v[88:89], v[88:89], v[0:1], -v[194:195]
	v_fma_f64 v[94:95], v[94:95], v[4:5], v[6:7]
	v_fma_f64 v[90:91], v[90:91], v[0:1], v[2:3]
	ds_load_b128 v[0:3], v203
	ds_load_b128 v[4:7], v204
	v_fma_f64 v[84:85], v[84:85], v[20:21], -v[205:206]
	s_wait_loadcnt_dscnt 0xb0e
	v_mul_f64_e32 v[8:9], v[152:153], v[30:31]
	v_mul_f64_e32 v[211:212], v[150:151], v[30:31]
	s_wait_loadcnt 0xa
	v_mul_f64_e32 v[10:11], v[148:149], v[26:27]
	v_mul_f64_e32 v[213:214], v[146:147], v[26:27]
	s_wait_loadcnt_dscnt 0x90d
	v_mul_f64_e32 v[215:216], v[156:157], v[38:39]
	v_mul_f64_e32 v[38:39], v[154:155], v[38:39]
	s_wait_loadcnt_dscnt 0x80c
	;; [unrolled: 3-line block ×3, first 2 shown]
	v_mul_f64_e32 v[219:220], v[172:173], v[42:43]
	v_mul_f64_e32 v[42:43], v[170:171], v[42:43]
	s_wait_loadcnt 0x6
	v_mul_f64_e32 v[205:206], v[164:165], v[50:51]
	v_mul_f64_e32 v[50:51], v[162:163], v[50:51]
	s_wait_loadcnt_dscnt 0x508
	v_mul_f64_e32 v[221:222], v[176:177], v[46:47]
	v_mul_f64_e32 v[46:47], v[174:175], v[46:47]
	v_fma_f64 v[80:81], v[80:81], v[16:17], -v[207:208]
	s_wait_loadcnt_dscnt 0x407
	v_mul_f64_e32 v[207:208], v[180:181], v[58:59]
	v_mul_f64_e32 v[58:59], v[178:179], v[58:59]
	s_wait_loadcnt_dscnt 0x305
	v_mul_f64_e32 v[223:224], v[188:189], v[54:55]
	v_mul_f64_e32 v[54:55], v[186:187], v[54:55]
	v_fma_f64 v[138:139], v[138:139], v[72:73], -v[209:210]
	v_fma_f64 v[74:75], v[140:141], v[72:73], v[74:75]
	s_wait_loadcnt 0x2
	v_mul_f64_e32 v[140:141], v[184:185], v[62:63]
	v_mul_f64_e32 v[209:210], v[182:183], v[62:63]
	s_wait_loadcnt_dscnt 0x104
	v_mul_f64_e32 v[225:226], v[192:193], v[70:71]
	v_mul_f64_e32 v[227:228], v[190:191], v[70:71]
	v_fma_f64 v[126:127], v[142:143], v[64:65], -v[126:127]
	s_wait_loadcnt_dscnt 0x3
	v_mul_f64_e32 v[142:143], v[14:15], v[78:79]
	v_mul_f64_e32 v[78:79], v[12:13], v[78:79]
	v_fma_f64 v[86:87], v[86:87], v[20:21], v[22:23]
	v_fma_f64 v[82:83], v[82:83], v[16:17], v[18:19]
	;; [unrolled: 1-line block ×3, first 2 shown]
	v_lshl_add_u32 v30, v122, 4, 0
	v_lshl_add_u32 v27, v120, 4, 0
	;; [unrolled: 1-line block ×3, first 2 shown]
	v_fma_f64 v[135:136], v[150:151], v[28:29], -v[8:9]
	v_fma_f64 v[28:29], v[152:153], v[28:29], v[211:212]
	v_fma_f64 v[144:145], v[146:147], v[24:25], -v[10:11]
	v_fma_f64 v[24:25], v[148:149], v[24:25], v[213:214]
	;; [unrolled: 2-line block ×7, first 2 shown]
	s_wait_dscnt 0x2
	v_add_f64_e32 v[152:153], v[96:97], v[100:101]
	v_fma_f64 v[46:47], v[178:179], v[56:57], -v[207:208]
	v_fma_f64 v[56:57], v[180:181], v[56:57], v[58:59]
	v_fma_f64 v[58:59], v[186:187], v[52:53], -v[223:224]
	v_fma_f64 v[52:53], v[188:189], v[52:53], v[54:55]
	v_add_f64_e32 v[154:155], v[92:93], v[88:89]
	ds_load_b128 v[8:11], v111
	ds_load_b128 v[16:19], v30
	v_fma_f64 v[54:55], v[182:183], v[60:61], -v[140:141]
	v_fma_f64 v[60:61], v[184:185], v[60:61], v[209:210]
	v_fma_f64 v[140:141], v[190:191], v[68:69], -v[225:226]
	v_fma_f64 v[68:69], v[192:193], v[68:69], v[227:228]
	v_add_f64_e32 v[156:157], v[94:95], v[90:91]
	v_fma_f64 v[142:143], v[12:13], v[76:77], -v[142:143]
	v_fma_f64 v[76:77], v[14:15], v[76:77], v[78:79]
	v_add_f64_e32 v[12:13], v[100:101], v[128:129]
	v_add_f64_e32 v[14:15], v[102:103], v[130:131]
	;; [unrolled: 1-line block ×3, first 2 shown]
	s_wait_dscnt 0x3
	v_add_f64_e32 v[158:159], v[2:3], v[94:95]
	v_add_f64_e32 v[162:163], v[84:85], v[80:81]
	;; [unrolled: 1-line block ×3, first 2 shown]
	s_wait_dscnt 0x2
	v_add_f64_e32 v[170:171], v[6:7], v[86:87]
	v_add_f64_e32 v[172:173], v[4:5], v[84:85]
	v_add_f64_e32 v[174:175], v[138:139], v[126:127]
	v_add_f64_e32 v[176:177], v[74:75], v[66:67]
	v_add_f64_e32 v[160:161], v[0:1], v[92:93]
	v_add_f64_e32 v[180:181], v[166:167], v[138:139]
	v_add_f64_e32 v[182:183], v[135:136], v[144:145]
	v_add_f64_e32 v[184:185], v[28:29], v[24:25]
	s_wait_dscnt 0x1
	v_add_f64_e32 v[186:187], v[10:11], v[28:29]
	v_add_f64_e32 v[188:189], v[8:9], v[135:136]
	;; [unrolled: 1-line block ×5, first 2 shown]
	s_wait_dscnt 0x0
	v_add_f64_e32 v[205:206], v[16:17], v[146:147]
	v_add_f64_e64 v[207:208], v[74:75], -v[66:67]
	v_add_f64_e32 v[74:75], v[150:151], v[42:43]
	v_add_f64_e32 v[209:210], v[40:41], v[48:49]
	ds_load_b128 v[20:23], v27
	ds_load_b128 v[34:37], v26
	ds_load_b128 v[62:65], v202
	ds_load_b128 v[70:73], v201
	v_add_f64_e32 v[217:218], v[50:51], v[46:47]
	v_add_f64_e32 v[219:220], v[44:45], v[56:57]
	v_add_f64_e64 v[102:103], v[102:103], -v[130:131]
	v_add_f64_e64 v[100:101], v[100:101], -v[128:129]
	v_add_f64_e32 v[194:195], v[18:19], v[38:39]
	v_add_f64_e64 v[94:95], v[94:95], -v[90:91]
	v_add_f64_e32 v[225:226], v[58:59], v[54:55]
	v_add_f64_e32 v[227:228], v[52:53], v[60:61]
	v_add_f64_e64 v[92:93], v[92:93], -v[88:89]
	v_add_f64_e64 v[86:87], v[86:87], -v[82:83]
	;; [unrolled: 1-line block ×5, first 2 shown]
	v_fma_f64 v[96:97], v[12:13], -0.5, v[96:97]
	v_fma_f64 v[98:99], v[14:15], -0.5, v[98:99]
	v_add_f64_e32 v[14:15], v[78:79], v[130:131]
	v_add_f64_e32 v[12:13], v[152:153], v[128:129]
	;; [unrolled: 1-line block ×3, first 2 shown]
	v_fma_f64 v[130:131], v[154:155], -0.5, v[0:1]
	v_add_f64_e32 v[154:155], v[68:69], v[76:77]
	s_wait_dscnt 0x3
	v_add_f64_e32 v[221:222], v[22:23], v[44:45]
	s_wait_dscnt 0x2
	v_add_f64_e32 v[78:79], v[34:35], v[58:59]
	v_add_f64_e32 v[231:232], v[36:37], v[52:53]
	v_fma_f64 v[152:153], v[156:157], -0.5, v[2:3]
	s_wait_dscnt 0x0
	v_add_f64_e32 v[156:157], v[72:73], v[68:69]
	v_add_f64_e32 v[2:3], v[158:159], v[90:91]
	v_fma_f64 v[68:69], v[162:163], -0.5, v[4:5]
	v_fma_f64 v[90:91], v[164:165], -0.5, v[6:7]
	v_add_f64_e32 v[211:212], v[64:65], v[40:41]
	v_add_f64_e32 v[6:7], v[170:171], v[82:83]
	v_add_f64_e32 v[4:5], v[172:173], v[80:81]
	v_fma_f64 v[80:81], v[174:175], -0.5, v[166:167]
	v_fma_f64 v[82:83], v[176:177], -0.5, v[168:169]
	v_add_f64_e64 v[28:29], v[28:29], -v[24:25]
	v_add_f64_e64 v[135:136], v[135:136], -v[144:145]
	;; [unrolled: 1-line block ×3, first 2 shown]
	v_add_f64_e32 v[0:1], v[160:161], v[88:89]
	v_add_f64_e32 v[88:89], v[70:71], v[140:141]
	v_add_f64_e64 v[239:240], v[140:141], -v[142:143]
	v_add_f64_e32 v[38:39], v[180:181], v[126:127]
	v_fma_f64 v[126:127], v[182:183], -0.5, v[8:9]
	v_fma_f64 v[139:140], v[184:185], -0.5, v[10:11]
	v_add_f64_e64 v[146:147], v[146:147], -v[148:149]
	v_add_f64_e32 v[10:11], v[186:187], v[24:25]
	v_add_f64_e32 v[8:9], v[188:189], v[144:145]
	v_fma_f64 v[24:25], v[190:191], -0.5, v[16:17]
	v_fma_f64 v[144:145], v[192:193], -0.5, v[18:19]
	v_add_f64_e32 v[223:224], v[20:21], v[50:51]
	v_add_f64_e32 v[213:214], v[62:63], v[150:151]
	v_add_f64_e64 v[229:230], v[40:41], -v[48:49]
	v_add_f64_e64 v[150:151], v[150:151], -v[42:43]
	v_add_f64_e32 v[16:17], v[205:206], v[148:149]
	v_fma_f64 v[148:149], v[74:75], -0.5, v[62:63]
	v_fma_f64 v[162:163], v[209:210], -0.5, v[64:65]
	v_add_f64_e64 v[158:159], v[44:45], -v[56:57]
	v_add_f64_e64 v[160:161], v[50:51], -v[46:47]
	v_fma_f64 v[164:165], v[217:218], -0.5, v[20:21]
	v_fma_f64 v[166:167], v[219:220], -0.5, v[22:23]
	v_add_f64_e64 v[233:234], v[52:53], -v[60:61]
	v_add_f64_e64 v[235:236], v[58:59], -v[54:55]
	v_fma_f64 v[168:169], v[225:226], -0.5, v[34:35]
	v_fma_f64 v[35:36], v[227:228], -0.5, v[36:37]
	v_fma_f64 v[170:171], v[128:129], -0.5, v[70:71]
	v_fma_f64 v[172:173], v[154:155], -0.5, v[72:73]
	v_fma_f64 v[50:51], v[102:103], s[2:3], v[96:97]
	v_fma_f64 v[52:53], v[100:101], s[6:7], v[98:99]
	v_add_f64_e32 v[18:19], v[194:195], v[31:32]
	v_add_f64_e32 v[22:23], v[221:222], v[56:57]
	;; [unrolled: 1-line block ×3, first 2 shown]
	v_fma_f64 v[54:55], v[102:103], s[6:7], v[96:97]
	v_fma_f64 v[56:57], v[100:101], s[2:3], v[98:99]
	v_add_f64_e32 v[33:34], v[231:232], v[60:61]
	v_fma_f64 v[58:59], v[94:95], s[2:3], v[130:131]
	v_fma_f64 v[60:61], v[92:93], s[6:7], v[152:153]
	;; [unrolled: 1-line block ×4, first 2 shown]
	v_add_f64_e32 v[40:41], v[178:179], v[66:67]
	v_fma_f64 v[66:67], v[86:87], s[2:3], v[68:69]
	v_fma_f64 v[70:71], v[86:87], s[6:7], v[68:69]
	;; [unrolled: 1-line block ×4, first 2 shown]
	v_add_f64_e32 v[44:45], v[211:212], v[48:49]
	v_add_f64_e32 v[48:49], v[156:157], v[76:77]
	v_fma_f64 v[74:75], v[207:208], s[2:3], v[80:81]
	v_fma_f64 v[76:77], v[137:138], s[6:7], v[82:83]
	v_fma_f64 v[78:79], v[207:208], s[6:7], v[80:81]
	v_fma_f64 v[80:81], v[137:138], s[2:3], v[82:83]
	v_fma_f64 v[82:83], v[28:29], s[2:3], v[126:127]
	v_fma_f64 v[84:85], v[135:136], s[6:7], v[139:140]
	v_fma_f64 v[90:91], v[215:216], s[2:3], v[24:25]
	v_fma_f64 v[92:93], v[146:147], s[6:7], v[144:145]
	v_add_f64_e32 v[20:21], v[223:224], v[46:47]
	v_add_f64_e32 v[46:47], v[88:89], v[142:143]
	v_fma_f64 v[86:87], v[28:29], s[6:7], v[126:127]
	v_fma_f64 v[88:89], v[135:136], s[2:3], v[139:140]
	;; [unrolled: 1-line block ×4, first 2 shown]
	v_add_f64_e32 v[42:43], v[213:214], v[42:43]
	v_fma_f64 v[98:99], v[229:230], s[2:3], v[148:149]
	v_fma_f64 v[100:101], v[150:151], s[6:7], v[162:163]
	;; [unrolled: 1-line block ×16, first 2 shown]
	v_lshl_add_u32 v24, v134, 4, 0
	v_lshl_add_u32 v25, v133, 4, 0
	;; [unrolled: 1-line block ×3, first 2 shown]
	v_add3_u32 v29, 0, v242, v243
	global_wb scope:SCOPE_SE
	s_barrier_signal -1
	s_barrier_wait -1
	global_inv scope:SCOPE_SE
	ds_store_b128 v196, v[12:15]
	ds_store_b128 v196, v[50:53] offset:4800
	ds_store_b128 v196, v[54:57] offset:9600
	ds_store_b128 v203, v[0:3]
	ds_store_b128 v203, v[58:61] offset:4800
	ds_store_b128 v203, v[62:65] offset:9600
	;; [unrolled: 3-line block ×4, first 2 shown]
	ds_store_b128 v196, v[8:11] offset:15360
	ds_store_b128 v196, v[16:19] offset:16800
	;; [unrolled: 1-line block ×6, first 2 shown]
	ds_store_b128 v29, v[42:45]
	ds_store_b128 v29, v[98:101] offset:4800
	ds_store_b128 v29, v[126:129] offset:9600
	;; [unrolled: 1-line block ×11, first 2 shown]
	global_wb scope:SCOPE_SE
	s_wait_dscnt 0x0
	s_barrier_signal -1
	s_barrier_wait -1
	global_inv scope:SCOPE_SE
	s_clause 0x3
	global_load_b128 v[0:3], v[107:108], off offset:14352
	global_load_b128 v[43:46], v[105:106], off offset:14368
	global_load_b128 v[4:7], v[107:108], off offset:14368
	global_load_b128 v[31:34], v[109:110], off offset:14352
	v_lshlrev_b32_e32 v103, 1, v124
	s_clause 0x1
	global_load_b128 v[35:38], v[109:110], off offset:14368
	global_load_b128 v[39:42], v[105:106], off offset:14352
	v_lshlrev_b64_e32 v[8:9], 4, v[103:104]
	v_lshlrev_b32_e32 v103, 1, v123
	s_delay_alu instid0(VALU_DEP_1) | instskip(SKIP_1) | instid1(VALU_DEP_4)
	v_lshlrev_b64_e32 v[10:11], 4, v[103:104]
	v_lshlrev_b32_e32 v103, 1, v122
	v_add_co_u32 v8, s0, s4, v8
	s_wait_alu 0xf1ff
	v_add_co_ci_u32_e64 v9, s0, s5, v9, s0
	s_delay_alu instid0(VALU_DEP_3)
	v_lshlrev_b64_e32 v[12:13], 4, v[103:104]
	v_lshlrev_b32_e32 v103, 1, v121
	v_add_co_u32 v10, s0, s4, v10
	global_load_b128 v[47:50], v[8:9], off offset:14352
	s_wait_alu 0xf1ff
	v_add_co_ci_u32_e64 v11, s0, s5, v11, s0
	v_lshlrev_b64_e32 v[14:15], 4, v[103:104]
	v_lshlrev_b32_e32 v103, 1, v120
	v_add_co_u32 v12, s0, s4, v12
	s_wait_alu 0xf1ff
	v_add_co_ci_u32_e64 v13, s0, s5, v13, s0
	s_delay_alu instid0(VALU_DEP_3)
	v_lshlrev_b64_e32 v[16:17], 4, v[103:104]
	v_lshlrev_b32_e32 v103, 1, v119
	s_clause 0x1
	global_load_b128 v[51:54], v[8:9], off offset:14368
	global_load_b128 v[55:58], v[10:11], off offset:14352
	v_add_co_u32 v14, s0, s4, v14
	global_load_b128 v[59:62], v[10:11], off offset:14368
	v_lshlrev_b64_e32 v[20:21], 4, v[103:104]
	v_lshlrev_b32_e32 v103, 1, v116
	s_wait_alu 0xf1ff
	v_add_co_ci_u32_e64 v15, s0, s5, v15, s0
	v_add_co_u32 v22, s0, s4, v16
	s_delay_alu instid0(VALU_DEP_3)
	v_lshlrev_b64_e32 v[28:29], 4, v[103:104]
	s_clause 0x1
	global_load_b128 v[63:66], v[12:13], off offset:14352
	global_load_b128 v[8:11], v[12:13], off offset:14368
	s_wait_alu 0xf1ff
	v_add_co_ci_u32_e64 v23, s0, s5, v17, s0
	v_add_co_u32 v24, s0, s4, v20
	s_clause 0x1
	global_load_b128 v[16:19], v[14:15], off offset:14352
	global_load_b128 v[12:15], v[14:15], off offset:14368
	s_wait_alu 0xf1ff
	v_add_co_ci_u32_e64 v25, s0, s5, v21, s0
	v_add_co_u32 v28, s0, s4, v28
	s_clause 0x2
	global_load_b128 v[67:70], v[22:23], off offset:14352
	global_load_b128 v[71:74], v[22:23], off offset:14368
	;; [unrolled: 1-line block ×3, first 2 shown]
	s_wait_alu 0xf1ff
	v_add_co_ci_u32_e64 v29, s0, s5, v29, s0
	s_clause 0x2
	global_load_b128 v[75:78], v[24:25], off offset:14368
	global_load_b128 v[79:82], v[28:29], off offset:14352
	;; [unrolled: 1-line block ×3, first 2 shown]
	ds_load_b128 v[87:90], v196 offset:14400
	ds_load_b128 v[91:94], v196 offset:28800
	;; [unrolled: 1-line block ×17, first 2 shown]
	ds_load_b128 v[174:177], v199
	ds_load_b128 v[178:181], v196 offset:25920
	ds_load_b128 v[182:185], v196 offset:27360
	;; [unrolled: 1-line block ×3, first 2 shown]
	ds_load_b128 v[190:193], v196
	s_wait_loadcnt_dscnt 0x1315
	v_mul_f64_e32 v[24:25], v[89:90], v[2:3]
	v_mul_f64_e32 v[2:3], v[87:88], v[2:3]
	s_wait_loadcnt_dscnt 0x1114
	v_mul_f64_e32 v[28:29], v[93:94], v[6:7]
	v_mul_f64_e32 v[6:7], v[91:92], v[6:7]
	s_wait_loadcnt_dscnt 0x1013
	v_mul_f64_e32 v[109:110], v[97:98], v[33:34]
	s_wait_loadcnt_dscnt 0xf12
	;; [unrolled: 2-line block ×3, first 2 shown]
	v_mul_f64_e32 v[205:206], v[107:108], v[41:42]
	s_wait_dscnt 0x10
	v_mul_f64_e32 v[207:208], v[128:129], v[45:46]
	v_mul_f64_e32 v[33:34], v[95:96], v[33:34]
	;; [unrolled: 1-line block ×5, first 2 shown]
	s_wait_loadcnt_dscnt 0xd0f
	v_mul_f64_e32 v[209:210], v[132:133], v[49:50]
	v_mul_f64_e32 v[49:50], v[130:131], v[49:50]
	s_wait_loadcnt_dscnt 0xc0e
	v_mul_f64_e32 v[211:212], v[136:137], v[53:54]
	v_fma_f64 v[87:88], v[87:88], v[0:1], -v[24:25]
	v_fma_f64 v[89:90], v[89:90], v[0:1], v[2:3]
	v_mul_f64_e32 v[0:1], v[134:135], v[53:54]
	s_wait_loadcnt_dscnt 0xb0c
	v_mul_f64_e32 v[24:25], v[144:145], v[57:58]
	v_mul_f64_e32 v[53:54], v[142:143], v[57:58]
	s_wait_loadcnt 0xa
	v_mul_f64_e32 v[57:58], v[140:141], v[61:62]
	v_mul_f64_e32 v[61:62], v[138:139], v[61:62]
	v_fma_f64 v[28:29], v[91:92], v[4:5], -v[28:29]
	v_fma_f64 v[91:92], v[93:94], v[4:5], v[6:7]
	s_wait_loadcnt_dscnt 0x90b
	v_mul_f64_e32 v[93:94], v[148:149], v[65:66]
	v_mul_f64_e32 v[65:66], v[146:147], v[65:66]
	s_wait_loadcnt_dscnt 0x80a
	v_mul_f64_e32 v[213:214], v[152:153], v[10:11]
	v_mul_f64_e32 v[10:11], v[150:151], v[10:11]
	v_fma_f64 v[95:96], v[95:96], v[31:32], -v[109:110]
	s_wait_loadcnt_dscnt 0x708
	v_mul_f64_e32 v[109:110], v[160:161], v[18:19]
	v_mul_f64_e32 v[18:19], v[158:159], v[18:19]
	s_wait_loadcnt 0x6
	v_mul_f64_e32 v[215:216], v[156:157], v[14:15]
	v_mul_f64_e32 v[14:15], v[154:155], v[14:15]
	v_fma_f64 v[99:100], v[99:100], v[35:36], -v[194:195]
	s_wait_loadcnt_dscnt 0x507
	v_mul_f64_e32 v[194:195], v[164:165], v[69:70]
	v_mul_f64_e32 v[69:70], v[162:163], v[69:70]
	s_wait_loadcnt_dscnt 0x406
	v_mul_f64_e32 v[217:218], v[168:169], v[73:74]
	v_mul_f64_e32 v[73:74], v[166:167], v[73:74]
	v_fma_f64 v[105:106], v[105:106], v[39:40], -v[205:206]
	s_wait_loadcnt_dscnt 0x303
	v_mul_f64_e32 v[205:206], v[180:181], v[22:23]
	v_mul_f64_e32 v[219:220], v[178:179], v[22:23]
	s_wait_loadcnt 0x2
	v_mul_f64_e32 v[221:222], v[172:173], v[77:78]
	v_mul_f64_e32 v[77:78], v[170:171], v[77:78]
	v_fma_f64 v[126:127], v[126:127], v[43:44], -v[207:208]
	s_wait_loadcnt_dscnt 0x102
	v_mul_f64_e32 v[207:208], v[184:185], v[81:82]
	v_mul_f64_e32 v[81:82], v[182:183], v[81:82]
	s_wait_loadcnt_dscnt 0x1
	v_mul_f64_e32 v[223:224], v[188:189], v[85:86]
	v_mul_f64_e32 v[85:86], v[186:187], v[85:86]
	v_fma_f64 v[97:98], v[97:98], v[31:32], v[33:34]
	v_fma_f64 v[101:102], v[101:102], v[35:36], v[37:38]
	;; [unrolled: 1-line block ×4, first 2 shown]
	v_fma_f64 v[130:131], v[130:131], v[47:48], -v[209:210]
	v_fma_f64 v[132:133], v[132:133], v[47:48], v[49:50]
	v_fma_f64 v[134:135], v[134:135], v[51:52], -v[211:212]
	v_fma_f64 v[51:52], v[136:137], v[51:52], v[0:1]
	;; [unrolled: 2-line block ×4, first 2 shown]
	ds_load_b128 v[0:3], v203
	ds_load_b128 v[4:7], v204
	;; [unrolled: 1-line block ×4, first 2 shown]
	v_fma_f64 v[59:60], v[146:147], v[63:64], -v[93:94]
	v_fma_f64 v[61:62], v[148:149], v[63:64], v[65:66]
	v_fma_f64 v[63:64], v[150:151], v[8:9], -v[213:214]
	v_fma_f64 v[65:66], v[152:153], v[8:9], v[10:11]
	ds_load_b128 v[35:38], v202
	ds_load_b128 v[39:42], v201
	v_fma_f64 v[8:9], v[158:159], v[16:17], -v[109:110]
	v_fma_f64 v[10:11], v[160:161], v[16:17], v[18:19]
	v_fma_f64 v[93:94], v[154:155], v[12:13], -v[215:216]
	v_fma_f64 v[109:110], v[156:157], v[12:13], v[14:15]
	s_wait_dscnt 0x6
	v_add_f64_e32 v[138:139], v[190:191], v[87:88]
	v_fma_f64 v[12:13], v[162:163], v[67:68], -v[194:195]
	v_fma_f64 v[14:15], v[164:165], v[67:68], v[69:70]
	v_fma_f64 v[67:68], v[166:167], v[71:72], -v[217:218]
	v_fma_f64 v[69:70], v[168:169], v[71:72], v[73:74]
	v_add_f64_e32 v[140:141], v[95:96], v[99:100]
	v_fma_f64 v[16:17], v[178:179], v[20:21], -v[205:206]
	v_fma_f64 v[18:19], v[180:181], v[20:21], v[219:220]
	v_fma_f64 v[71:72], v[170:171], v[75:76], -v[221:222]
	v_fma_f64 v[73:74], v[172:173], v[75:76], v[77:78]
	;; [unrolled: 5-line block ×3, first 2 shown]
	v_add_f64_e32 v[81:82], v[87:88], v[28:29]
	v_add_f64_e32 v[83:84], v[89:90], v[91:92]
	;; [unrolled: 1-line block ×5, first 2 shown]
	s_wait_dscnt 0x5
	v_add_f64_e32 v[144:145], v[2:3], v[97:98]
	v_add_f64_e32 v[146:147], v[0:1], v[95:96]
	;; [unrolled: 1-line block ×4, first 2 shown]
	s_wait_dscnt 0x4
	v_add_f64_e32 v[154:155], v[4:5], v[105:106]
	v_add_f64_e32 v[164:165], v[136:137], v[55:56]
	v_add_f64_e32 v[166:167], v[53:54], v[57:58]
	v_add_f64_e32 v[152:153], v[6:7], v[107:108]
	v_add_f64_e32 v[162:163], v[174:175], v[130:131]
	s_wait_dscnt 0x3
	v_add_f64_e32 v[168:169], v[24:25], v[53:54]
	s_wait_dscnt 0x2
	v_add_f64_e32 v[182:183], v[31:32], v[59:60]
	v_add_f64_e32 v[172:173], v[59:60], v[63:64]
	v_add_f64_e32 v[178:179], v[61:62], v[65:66]
	v_add_f64_e64 v[205:206], v[53:54], -v[57:58]
	v_add_f64_e64 v[209:210], v[59:60], -v[63:64]
	s_wait_dscnt 0x1
	v_add_f64_e32 v[188:189], v[37:38], v[10:11]
	v_add_f64_e32 v[184:185], v[8:9], v[93:94]
	;; [unrolled: 1-line block ×3, first 2 shown]
	ds_load_b128 v[43:46], v27
	ds_load_b128 v[47:50], v26
	v_add_f64_e64 v[89:90], v[89:90], -v[91:92]
	v_add_f64_e64 v[87:88], v[87:88], -v[28:29]
	v_add_f64_e32 v[53:54], v[12:13], v[67:68]
	v_add_f64_e32 v[59:60], v[14:15], v[69:70]
	v_add_f64_e32 v[160:161], v[176:177], v[132:133]
	v_add_f64_e64 v[97:98], v[97:98], -v[101:102]
	v_add_f64_e64 v[95:96], v[95:96], -v[99:100]
	v_add_f64_e32 v[217:218], v[16:17], v[71:72]
	v_add_f64_e32 v[219:220], v[18:19], v[73:74]
	;; [unrolled: 1-line block ×4, first 2 shown]
	v_add_f64_e64 v[213:214], v[8:9], -v[93:94]
	v_add_f64_e32 v[225:226], v[20:21], v[77:78]
	v_add_f64_e32 v[227:228], v[75:76], v[79:80]
	v_fma_f64 v[81:82], v[81:82], -0.5, v[190:191]
	v_fma_f64 v[83:84], v[83:84], -0.5, v[192:193]
	s_wait_dscnt 0x2
	v_add_f64_e32 v[229:230], v[41:42], v[75:76]
	v_add_f64_e64 v[237:238], v[75:76], -v[79:80]
	v_add_f64_e32 v[8:9], v[138:139], v[28:29]
	v_fma_f64 v[28:29], v[140:141], -0.5, v[0:1]
	v_fma_f64 v[75:76], v[142:143], -0.5, v[2:3]
	v_add_f64_e32 v[180:181], v[33:34], v[61:62]
	v_add_f64_e64 v[207:208], v[61:62], -v[65:66]
	s_wait_dscnt 0x1
	v_add_f64_e32 v[61:62], v[45:46], v[14:15]
	v_add_f64_e64 v[107:108], v[107:108], -v[128:129]
	v_add_f64_e64 v[105:106], v[105:106], -v[126:127]
	v_add_f64_e64 v[211:212], v[10:11], -v[109:110]
	v_add_f64_e32 v[10:11], v[85:86], v[91:92]
	v_fma_f64 v[85:86], v[148:149], -0.5, v[4:5]
	v_fma_f64 v[91:92], v[150:151], -0.5, v[6:7]
	v_add_f64_e32 v[215:216], v[43:44], v[12:13]
	v_add_f64_e64 v[132:133], v[132:133], -v[51:52]
	v_add_f64_e64 v[130:131], v[130:131], -v[134:135]
	s_wait_dscnt 0x0
	v_add_f64_e32 v[221:222], v[49:50], v[18:19]
	v_add_f64_e32 v[223:224], v[47:48], v[16:17]
	;; [unrolled: 1-line block ×4, first 2 shown]
	v_fma_f64 v[99:100], v[156:157], -0.5, v[174:175]
	v_fma_f64 v[101:102], v[158:159], -0.5, v[176:177]
	v_add_f64_e32 v[190:191], v[39:40], v[20:21]
	v_add_f64_e64 v[136:137], v[136:137], -v[55:56]
	v_add_f64_e32 v[4:5], v[154:155], v[126:127]
	v_fma_f64 v[126:127], v[164:165], -0.5, v[22:23]
	v_fma_f64 v[24:25], v[166:167], -0.5, v[24:25]
	v_add_f64_e64 v[231:232], v[12:13], -v[67:68]
	v_add_f64_e32 v[6:7], v[152:153], v[128:129]
	v_add_f64_e32 v[12:13], v[162:163], v[134:135]
	v_fma_f64 v[128:129], v[172:173], -0.5, v[31:32]
	v_fma_f64 v[134:135], v[178:179], -0.5, v[33:34]
	;; [unrolled: 1-line block ×4, first 2 shown]
	v_add_f64_e64 v[192:193], v[14:15], -v[69:70]
	v_add_f64_e32 v[33:34], v[188:189], v[109:110]
	v_fma_f64 v[109:110], v[53:54], -0.5, v[43:44]
	v_fma_f64 v[142:143], v[59:60], -0.5, v[45:46]
	v_add_f64_e64 v[233:234], v[18:19], -v[73:74]
	v_add_f64_e64 v[235:236], v[16:17], -v[71:72]
	v_fma_f64 v[144:145], v[217:218], -0.5, v[47:48]
	v_fma_f64 v[146:147], v[219:220], -0.5, v[49:50]
	v_add_f64_e64 v[239:240], v[20:21], -v[77:78]
	v_fma_f64 v[148:149], v[225:226], -0.5, v[39:40]
	v_fma_f64 v[150:151], v[227:228], -0.5, v[41:42]
	v_fma_f64 v[47:48], v[89:90], s[2:3], v[81:82]
	v_fma_f64 v[49:50], v[87:88], s[6:7], v[83:84]
	v_add_f64_e32 v[14:15], v[160:161], v[51:52]
	v_fma_f64 v[51:52], v[89:90], s[6:7], v[81:82]
	v_fma_f64 v[53:54], v[87:88], s[2:3], v[83:84]
	v_add_f64_e32 v[18:19], v[168:169], v[57:58]
	v_add_f64_e32 v[16:17], v[170:171], v[55:56]
	v_fma_f64 v[55:56], v[97:98], s[2:3], v[28:29]
	v_fma_f64 v[57:58], v[95:96], s[6:7], v[75:76]
	v_add_f64_e32 v[37:38], v[61:62], v[69:70]
	v_fma_f64 v[59:60], v[97:98], s[6:7], v[28:29]
	v_fma_f64 v[61:62], v[95:96], s[2:3], v[75:76]
	v_add_f64_e32 v[22:23], v[180:181], v[65:66]
	v_add_f64_e32 v[20:21], v[182:183], v[63:64]
	;; [unrolled: 7-line block ×3, first 2 shown]
	v_fma_f64 v[71:72], v[132:133], s[2:3], v[99:100]
	v_fma_f64 v[73:74], v[130:131], s[6:7], v[101:102]
	v_add_f64_e32 v[39:40], v[190:191], v[77:78]
	v_fma_f64 v[75:76], v[132:133], s[6:7], v[99:100]
	v_fma_f64 v[77:78], v[130:131], s[2:3], v[101:102]
	v_add_f64_e32 v[41:42], v[229:230], v[79:80]
	v_fma_f64 v[79:80], v[205:206], s[2:3], v[126:127]
	v_fma_f64 v[81:82], v[136:137], s[6:7], v[24:25]
	;; [unrolled: 1-line block ×6, first 2 shown]
	v_add_f64_e32 v[31:32], v[194:195], v[93:94]
	v_fma_f64 v[91:92], v[207:208], s[6:7], v[128:129]
	v_fma_f64 v[93:94], v[209:210], s[2:3], v[134:135]
	;; [unrolled: 1-line block ×18, first 2 shown]
	global_wb scope:SCOPE_SE
	s_barrier_signal -1
	s_barrier_wait -1
	global_inv scope:SCOPE_SE
	ds_store_b128 v196, v[8:11]
	ds_store_b128 v196, v[47:50] offset:14400
	ds_store_b128 v196, v[51:54] offset:28800
	ds_store_b128 v203, v[0:3]
	ds_store_b128 v203, v[55:58] offset:14400
	ds_store_b128 v203, v[59:62] offset:28800
	;; [unrolled: 3-line block ×10, first 2 shown]
	global_wb scope:SCOPE_SE
	s_wait_dscnt 0x0
	s_barrier_signal -1
	s_barrier_wait -1
	global_inv scope:SCOPE_SE
	ds_load_b128 v[4:7], v196
	v_sub_nc_u32_e32 v12, 0, v113
                                        ; implicit-def: $vgpr2_vgpr3
                                        ; implicit-def: $vgpr10_vgpr11
                                        ; implicit-def: $vgpr8_vgpr9
	v_cmpx_ne_u32_e32 0, v112
	s_wait_alu 0xfffe
	s_xor_b32 s1, exec_lo, s1
	s_cbranch_execz .LBB0_15
; %bb.14:
	v_mov_b32_e32 v113, v104
	s_delay_alu instid0(VALU_DEP_1) | instskip(NEXT) | instid1(VALU_DEP_1)
	v_lshlrev_b64_e32 v[0:1], 4, v[112:113]
	v_add_co_u32 v0, s0, s4, v0
	s_wait_alu 0xf1ff
	s_delay_alu instid0(VALU_DEP_2)
	v_add_co_ci_u32_e64 v1, s0, s5, v1, s0
	global_load_b128 v[8:11], v[0:1], off offset:43152
	ds_load_b128 v[0:3], v12 offset:43200
	s_wait_dscnt 0x0
	v_add_f64_e64 v[13:14], v[4:5], -v[0:1]
	v_add_f64_e32 v[15:16], v[6:7], v[2:3]
	v_add_f64_e64 v[2:3], v[6:7], -v[2:3]
	v_add_f64_e32 v[0:1], v[4:5], v[0:1]
	s_delay_alu instid0(VALU_DEP_4) | instskip(NEXT) | instid1(VALU_DEP_4)
	v_mul_f64_e32 v[6:7], 0.5, v[13:14]
	v_mul_f64_e32 v[4:5], 0.5, v[15:16]
	s_delay_alu instid0(VALU_DEP_4) | instskip(SKIP_1) | instid1(VALU_DEP_3)
	v_mul_f64_e32 v[2:3], 0.5, v[2:3]
	s_wait_loadcnt 0x0
	v_mul_f64_e32 v[13:14], v[6:7], v[10:11]
	s_delay_alu instid0(VALU_DEP_2) | instskip(SKIP_1) | instid1(VALU_DEP_3)
	v_fma_f64 v[15:16], v[4:5], v[10:11], v[2:3]
	v_fma_f64 v[2:3], v[4:5], v[10:11], -v[2:3]
	v_fma_f64 v[17:18], v[0:1], 0.5, v[13:14]
	v_fma_f64 v[0:1], v[0:1], 0.5, -v[13:14]
	s_delay_alu instid0(VALU_DEP_4) | instskip(NEXT) | instid1(VALU_DEP_4)
	v_fma_f64 v[10:11], -v[8:9], v[6:7], v[15:16]
	v_fma_f64 v[2:3], -v[8:9], v[6:7], v[2:3]
	s_delay_alu instid0(VALU_DEP_4) | instskip(NEXT) | instid1(VALU_DEP_4)
	v_fma_f64 v[13:14], v[4:5], v[8:9], v[17:18]
	v_fma_f64 v[0:1], -v[4:5], v[8:9], v[0:1]
	v_dual_mov_b32 v8, v112 :: v_dual_mov_b32 v9, v113
                                        ; implicit-def: $vgpr4_vgpr5
	ds_store_b64 v196, v[13:14]
.LBB0_15:
	s_wait_alu 0xfffe
	s_or_saveexec_b32 s0, s1
	v_sub_nc_u32_e32 v14, 0, v118
	v_sub_nc_u32_e32 v13, 0, v200
	s_wait_alu 0xfffe
	s_xor_b32 exec_lo, exec_lo, s0
	s_cbranch_execz .LBB0_17
; %bb.16:
	s_wait_dscnt 0x0
	v_add_f64_e32 v[15:16], v[4:5], v[6:7]
	v_add_f64_e64 v[0:1], v[4:5], -v[6:7]
	v_mov_b32_e32 v6, 0
	v_mov_b32_e32 v10, 0
	v_dual_mov_b32 v11, 0 :: v_dual_mov_b32 v8, 0
	s_delay_alu instid0(VALU_DEP_2)
	v_mov_b32_e32 v2, v10
	ds_load_b64 v[4:5], v6 offset:21608
	v_mov_b32_e32 v9, 0
	v_mov_b32_e32 v3, v11
	s_wait_dscnt 0x0
	v_xor_b32_e32 v5, 0x80000000, v5
	ds_store_b64 v196, v[15:16]
	ds_store_b64 v6, v[4:5] offset:21608
.LBB0_17:
	s_or_b32 exec_lo, exec_lo, s0
	v_dual_mov_b32 v118, 0 :: v_dual_add_nc_u32 v25, v198, v14
	s_wait_dscnt 0x0
	s_delay_alu instid0(VALU_DEP_1) | instskip(SKIP_1) | instid1(VALU_DEP_2)
	v_lshlrev_b64_e32 v[4:5], 4, v[117:118]
	v_dual_mov_b32 v126, v118 :: v_dual_mov_b32 v117, v118
	v_add_co_u32 v4, s0, s4, v4
	s_wait_alu 0xf1ff
	s_delay_alu instid0(VALU_DEP_3) | instskip(NEXT) | instid1(VALU_DEP_3)
	v_add_co_ci_u32_e64 v5, s0, s5, v5, s0
	v_lshlrev_b64_e32 v[15:16], 4, v[125:126]
	v_mov_b32_e32 v125, v118
	global_load_b128 v[4:7], v[4:5], off offset:43152
	v_add_co_u32 v15, s0, s4, v15
	s_wait_alu 0xf1ff
	v_add_co_ci_u32_e64 v16, s0, s5, v16, s0
	global_load_b128 v[15:18], v[15:16], off offset:43152
	ds_store_b64 v196, v[10:11] offset:8
	ds_store_b128 v12, v[0:3] offset:43200
	ds_load_b128 v[0:3], v203
	ds_load_b128 v[19:22], v12 offset:41760
	s_wait_dscnt 0x0
	v_add_f64_e64 v[10:11], v[0:1], -v[19:20]
	v_add_f64_e32 v[23:24], v[2:3], v[21:22]
	v_add_f64_e64 v[2:3], v[2:3], -v[21:22]
	v_add_f64_e32 v[0:1], v[0:1], v[19:20]
	s_delay_alu instid0(VALU_DEP_4) | instskip(NEXT) | instid1(VALU_DEP_4)
	v_mul_f64_e32 v[10:11], 0.5, v[10:11]
	v_mul_f64_e32 v[21:22], 0.5, v[23:24]
	s_delay_alu instid0(VALU_DEP_4) | instskip(SKIP_1) | instid1(VALU_DEP_3)
	v_mul_f64_e32 v[2:3], 0.5, v[2:3]
	s_wait_loadcnt 0x1
	v_mul_f64_e32 v[19:20], v[10:11], v[6:7]
	s_delay_alu instid0(VALU_DEP_2) | instskip(SKIP_1) | instid1(VALU_DEP_3)
	v_fma_f64 v[23:24], v[21:22], v[6:7], v[2:3]
	v_fma_f64 v[6:7], v[21:22], v[6:7], -v[2:3]
	v_fma_f64 v[28:29], v[0:1], 0.5, v[19:20]
	v_fma_f64 v[19:20], v[0:1], 0.5, -v[19:20]
	s_delay_alu instid0(VALU_DEP_4) | instskip(NEXT) | instid1(VALU_DEP_4)
	v_fma_f64 v[2:3], -v[4:5], v[10:11], v[23:24]
	v_fma_f64 v[6:7], -v[4:5], v[10:11], v[6:7]
	v_lshlrev_b64_e32 v[10:11], 4, v[124:125]
	v_mov_b32_e32 v124, v118
	s_delay_alu instid0(VALU_DEP_2) | instskip(SKIP_1) | instid1(VALU_DEP_3)
	v_add_co_u32 v10, s0, s4, v10
	s_wait_alu 0xf1ff
	v_add_co_ci_u32_e64 v11, s0, s5, v11, s0
	v_fma_f64 v[0:1], v[21:22], v[4:5], v[28:29]
	v_fma_f64 v[4:5], -v[21:22], v[4:5], v[19:20]
	global_load_b128 v[19:22], v[10:11], off offset:43152
	ds_store_b128 v203, v[0:3]
	ds_store_b128 v12, v[4:7] offset:41760
	ds_load_b128 v[0:3], v204
	ds_load_b128 v[4:7], v12 offset:40320
	s_wait_dscnt 0x0
	v_add_f64_e64 v[10:11], v[0:1], -v[4:5]
	v_add_f64_e32 v[23:24], v[2:3], v[6:7]
	v_add_f64_e64 v[2:3], v[2:3], -v[6:7]
	v_add_f64_e32 v[0:1], v[0:1], v[4:5]
	s_delay_alu instid0(VALU_DEP_4) | instskip(NEXT) | instid1(VALU_DEP_4)
	v_mul_f64_e32 v[6:7], 0.5, v[10:11]
	v_mul_f64_e32 v[10:11], 0.5, v[23:24]
	s_delay_alu instid0(VALU_DEP_4) | instskip(SKIP_1) | instid1(VALU_DEP_3)
	v_mul_f64_e32 v[2:3], 0.5, v[2:3]
	s_wait_loadcnt 0x1
	v_mul_f64_e32 v[4:5], v[6:7], v[17:18]
	s_delay_alu instid0(VALU_DEP_2) | instskip(SKIP_1) | instid1(VALU_DEP_3)
	v_fma_f64 v[23:24], v[10:11], v[17:18], v[2:3]
	v_fma_f64 v[17:18], v[10:11], v[17:18], -v[2:3]
	v_fma_f64 v[28:29], v[0:1], 0.5, v[4:5]
	v_fma_f64 v[4:5], v[0:1], 0.5, -v[4:5]
	s_delay_alu instid0(VALU_DEP_4) | instskip(NEXT) | instid1(VALU_DEP_4)
	v_fma_f64 v[2:3], -v[15:16], v[6:7], v[23:24]
	v_fma_f64 v[6:7], -v[15:16], v[6:7], v[17:18]
	s_delay_alu instid0(VALU_DEP_4) | instskip(NEXT) | instid1(VALU_DEP_4)
	v_fma_f64 v[0:1], v[10:11], v[15:16], v[28:29]
	v_fma_f64 v[4:5], -v[10:11], v[15:16], v[4:5]
	v_lshlrev_b64_e32 v[10:11], 4, v[123:124]
	v_mov_b32_e32 v123, v118
	s_delay_alu instid0(VALU_DEP_2) | instskip(SKIP_1) | instid1(VALU_DEP_3)
	v_add_co_u32 v10, s0, s4, v10
	s_wait_alu 0xf1ff
	v_add_co_ci_u32_e64 v11, s0, s5, v11, s0
	global_load_b128 v[15:18], v[10:11], off offset:43152
	ds_store_b128 v204, v[0:3]
	ds_store_b128 v12, v[4:7] offset:40320
	ds_load_b128 v[0:3], v199
	ds_load_b128 v[4:7], v12 offset:38880
	s_wait_dscnt 0x0
	v_add_f64_e64 v[10:11], v[0:1], -v[4:5]
	v_add_f64_e32 v[23:24], v[2:3], v[6:7]
	v_add_f64_e64 v[2:3], v[2:3], -v[6:7]
	v_add_f64_e32 v[0:1], v[0:1], v[4:5]
	s_delay_alu instid0(VALU_DEP_4) | instskip(NEXT) | instid1(VALU_DEP_4)
	v_mul_f64_e32 v[6:7], 0.5, v[10:11]
	v_mul_f64_e32 v[10:11], 0.5, v[23:24]
	s_delay_alu instid0(VALU_DEP_4) | instskip(SKIP_1) | instid1(VALU_DEP_3)
	v_mul_f64_e32 v[2:3], 0.5, v[2:3]
	s_wait_loadcnt 0x1
	v_mul_f64_e32 v[4:5], v[6:7], v[21:22]
	s_delay_alu instid0(VALU_DEP_2) | instskip(SKIP_1) | instid1(VALU_DEP_3)
	v_fma_f64 v[23:24], v[10:11], v[21:22], v[2:3]
	v_fma_f64 v[21:22], v[10:11], v[21:22], -v[2:3]
	v_fma_f64 v[28:29], v[0:1], 0.5, v[4:5]
	v_fma_f64 v[4:5], v[0:1], 0.5, -v[4:5]
	s_delay_alu instid0(VALU_DEP_4) | instskip(NEXT) | instid1(VALU_DEP_4)
	v_fma_f64 v[2:3], -v[19:20], v[6:7], v[23:24]
	v_fma_f64 v[6:7], -v[19:20], v[6:7], v[21:22]
	s_delay_alu instid0(VALU_DEP_4) | instskip(NEXT) | instid1(VALU_DEP_4)
	v_fma_f64 v[0:1], v[10:11], v[19:20], v[28:29]
	v_fma_f64 v[4:5], -v[10:11], v[19:20], v[4:5]
	v_lshlrev_b64_e32 v[10:11], 4, v[122:123]
	v_mov_b32_e32 v122, v118
	s_delay_alu instid0(VALU_DEP_2) | instskip(SKIP_1) | instid1(VALU_DEP_3)
	v_add_co_u32 v10, s0, s4, v10
	s_wait_alu 0xf1ff
	v_add_co_ci_u32_e64 v11, s0, s5, v11, s0
	global_load_b128 v[19:22], v[10:11], off offset:43152
	ds_store_b128 v199, v[0:3]
	ds_store_b128 v12, v[4:7] offset:38880
	ds_load_b128 v[0:3], v111
	ds_load_b128 v[4:7], v12 offset:37440
	s_wait_dscnt 0x0
	v_add_f64_e64 v[10:11], v[0:1], -v[4:5]
	v_add_f64_e32 v[23:24], v[2:3], v[6:7]
	v_add_f64_e64 v[2:3], v[2:3], -v[6:7]
	v_add_f64_e32 v[0:1], v[0:1], v[4:5]
	s_delay_alu instid0(VALU_DEP_4) | instskip(NEXT) | instid1(VALU_DEP_4)
	v_mul_f64_e32 v[6:7], 0.5, v[10:11]
	v_mul_f64_e32 v[10:11], 0.5, v[23:24]
	s_delay_alu instid0(VALU_DEP_4) | instskip(SKIP_1) | instid1(VALU_DEP_3)
	v_mul_f64_e32 v[2:3], 0.5, v[2:3]
	s_wait_loadcnt 0x1
	v_mul_f64_e32 v[4:5], v[6:7], v[17:18]
	s_delay_alu instid0(VALU_DEP_2) | instskip(SKIP_1) | instid1(VALU_DEP_3)
	v_fma_f64 v[23:24], v[10:11], v[17:18], v[2:3]
	v_fma_f64 v[17:18], v[10:11], v[17:18], -v[2:3]
	v_fma_f64 v[28:29], v[0:1], 0.5, v[4:5]
	v_fma_f64 v[4:5], v[0:1], 0.5, -v[4:5]
	s_delay_alu instid0(VALU_DEP_4) | instskip(NEXT) | instid1(VALU_DEP_4)
	v_fma_f64 v[2:3], -v[15:16], v[6:7], v[23:24]
	v_fma_f64 v[6:7], -v[15:16], v[6:7], v[17:18]
	s_delay_alu instid0(VALU_DEP_4) | instskip(NEXT) | instid1(VALU_DEP_4)
	v_fma_f64 v[0:1], v[10:11], v[15:16], v[28:29]
	v_fma_f64 v[4:5], -v[10:11], v[15:16], v[4:5]
	v_lshlrev_b64_e32 v[10:11], 4, v[121:122]
	v_mov_b32_e32 v121, v118
	s_delay_alu instid0(VALU_DEP_2) | instskip(SKIP_1) | instid1(VALU_DEP_3)
	v_add_co_u32 v10, s0, s4, v10
	s_wait_alu 0xf1ff
	v_add_co_ci_u32_e64 v11, s0, s5, v11, s0
	global_load_b128 v[15:18], v[10:11], off offset:43152
	ds_store_b128 v111, v[0:3]
	ds_store_b128 v12, v[4:7] offset:37440
	ds_load_b128 v[0:3], v30
	ds_load_b128 v[4:7], v12 offset:36000
	s_wait_dscnt 0x0
	v_add_f64_e64 v[10:11], v[0:1], -v[4:5]
	v_add_f64_e32 v[23:24], v[2:3], v[6:7]
	v_add_f64_e64 v[2:3], v[2:3], -v[6:7]
	v_add_f64_e32 v[0:1], v[0:1], v[4:5]
	s_delay_alu instid0(VALU_DEP_4) | instskip(NEXT) | instid1(VALU_DEP_4)
	v_mul_f64_e32 v[6:7], 0.5, v[10:11]
	v_mul_f64_e32 v[10:11], 0.5, v[23:24]
	s_delay_alu instid0(VALU_DEP_4) | instskip(SKIP_1) | instid1(VALU_DEP_3)
	v_mul_f64_e32 v[2:3], 0.5, v[2:3]
	s_wait_loadcnt 0x1
	v_mul_f64_e32 v[4:5], v[6:7], v[21:22]
	s_delay_alu instid0(VALU_DEP_2) | instskip(SKIP_1) | instid1(VALU_DEP_3)
	v_fma_f64 v[23:24], v[10:11], v[21:22], v[2:3]
	v_fma_f64 v[21:22], v[10:11], v[21:22], -v[2:3]
	v_fma_f64 v[28:29], v[0:1], 0.5, v[4:5]
	v_fma_f64 v[4:5], v[0:1], 0.5, -v[4:5]
	s_delay_alu instid0(VALU_DEP_4) | instskip(NEXT) | instid1(VALU_DEP_4)
	v_fma_f64 v[2:3], -v[19:20], v[6:7], v[23:24]
	v_fma_f64 v[6:7], -v[19:20], v[6:7], v[21:22]
	s_delay_alu instid0(VALU_DEP_4) | instskip(NEXT) | instid1(VALU_DEP_4)
	v_fma_f64 v[0:1], v[10:11], v[19:20], v[28:29]
	v_fma_f64 v[4:5], -v[10:11], v[19:20], v[4:5]
	v_lshlrev_b64_e32 v[10:11], 4, v[120:121]
	v_mov_b32_e32 v120, v118
	s_delay_alu instid0(VALU_DEP_2) | instskip(SKIP_1) | instid1(VALU_DEP_3)
	v_add_co_u32 v10, s0, s4, v10
	s_wait_alu 0xf1ff
	v_add_co_ci_u32_e64 v11, s0, s5, v11, s0
	global_load_b128 v[19:22], v[10:11], off offset:43152
	ds_store_b128 v30, v[0:3]
	ds_store_b128 v12, v[4:7] offset:36000
	ds_load_b128 v[0:3], v25
	ds_load_b128 v[4:7], v12 offset:34560
	s_wait_dscnt 0x0
	v_add_f64_e64 v[10:11], v[0:1], -v[4:5]
	v_add_f64_e32 v[23:24], v[2:3], v[6:7]
	v_add_f64_e64 v[2:3], v[2:3], -v[6:7]
	v_add_f64_e32 v[0:1], v[0:1], v[4:5]
	s_delay_alu instid0(VALU_DEP_4) | instskip(NEXT) | instid1(VALU_DEP_4)
	v_mul_f64_e32 v[6:7], 0.5, v[10:11]
	v_mul_f64_e32 v[10:11], 0.5, v[23:24]
	s_delay_alu instid0(VALU_DEP_4) | instskip(SKIP_1) | instid1(VALU_DEP_3)
	v_mul_f64_e32 v[2:3], 0.5, v[2:3]
	s_wait_loadcnt 0x1
	v_mul_f64_e32 v[4:5], v[6:7], v[17:18]
	s_delay_alu instid0(VALU_DEP_2) | instskip(SKIP_1) | instid1(VALU_DEP_3)
	v_fma_f64 v[23:24], v[10:11], v[17:18], v[2:3]
	v_fma_f64 v[17:18], v[10:11], v[17:18], -v[2:3]
	v_fma_f64 v[28:29], v[0:1], 0.5, v[4:5]
	v_fma_f64 v[4:5], v[0:1], 0.5, -v[4:5]
	s_delay_alu instid0(VALU_DEP_4) | instskip(NEXT) | instid1(VALU_DEP_4)
	v_fma_f64 v[2:3], -v[15:16], v[6:7], v[23:24]
	v_fma_f64 v[6:7], -v[15:16], v[6:7], v[17:18]
	s_delay_alu instid0(VALU_DEP_4) | instskip(NEXT) | instid1(VALU_DEP_4)
	v_fma_f64 v[0:1], v[10:11], v[15:16], v[28:29]
	v_fma_f64 v[4:5], -v[10:11], v[15:16], v[4:5]
	v_lshlrev_b64_e32 v[10:11], 4, v[119:120]
	s_delay_alu instid0(VALU_DEP_1) | instskip(SKIP_1) | instid1(VALU_DEP_2)
	v_add_co_u32 v10, s0, s4, v10
	s_wait_alu 0xf1ff
	v_add_co_ci_u32_e64 v11, s0, s5, v11, s0
	global_load_b128 v[14:17], v[10:11], off offset:43152
	ds_store_b128 v25, v[0:3]
	ds_store_b128 v12, v[4:7] offset:34560
	ds_load_b128 v[0:3], v27
	ds_load_b128 v[4:7], v12 offset:33120
	s_wait_dscnt 0x0
	v_add_f64_e64 v[10:11], v[0:1], -v[4:5]
	v_add_f64_e32 v[23:24], v[2:3], v[6:7]
	v_add_f64_e64 v[2:3], v[2:3], -v[6:7]
	v_add_f64_e32 v[0:1], v[0:1], v[4:5]
	s_delay_alu instid0(VALU_DEP_4) | instskip(NEXT) | instid1(VALU_DEP_4)
	v_mul_f64_e32 v[6:7], 0.5, v[10:11]
	v_mul_f64_e32 v[10:11], 0.5, v[23:24]
	s_delay_alu instid0(VALU_DEP_4) | instskip(SKIP_1) | instid1(VALU_DEP_3)
	v_mul_f64_e32 v[2:3], 0.5, v[2:3]
	s_wait_loadcnt 0x1
	v_mul_f64_e32 v[4:5], v[6:7], v[21:22]
	s_delay_alu instid0(VALU_DEP_2) | instskip(SKIP_1) | instid1(VALU_DEP_3)
	v_fma_f64 v[23:24], v[10:11], v[21:22], v[2:3]
	v_fma_f64 v[21:22], v[10:11], v[21:22], -v[2:3]
	v_fma_f64 v[28:29], v[0:1], 0.5, v[4:5]
	v_fma_f64 v[4:5], v[0:1], 0.5, -v[4:5]
	s_delay_alu instid0(VALU_DEP_4) | instskip(NEXT) | instid1(VALU_DEP_4)
	v_fma_f64 v[2:3], -v[19:20], v[6:7], v[23:24]
	v_fma_f64 v[6:7], -v[19:20], v[6:7], v[21:22]
	s_delay_alu instid0(VALU_DEP_4) | instskip(NEXT) | instid1(VALU_DEP_4)
	v_fma_f64 v[0:1], v[10:11], v[19:20], v[28:29]
	v_fma_f64 v[4:5], -v[10:11], v[19:20], v[4:5]
	v_lshlrev_b64_e32 v[10:11], 4, v[116:117]
	v_add_nc_u32_e32 v28, v197, v13
	s_delay_alu instid0(VALU_DEP_2) | instskip(SKIP_1) | instid1(VALU_DEP_3)
	v_add_co_u32 v10, s0, s4, v10
	s_wait_alu 0xf1ff
	v_add_co_ci_u32_e64 v11, s0, s5, v11, s0
	s_add_nc_u64 s[0:1], s[4:5], 0xa890
	global_load_b128 v[18:21], v[10:11], off offset:43152
	ds_store_b128 v27, v[0:3]
	ds_store_b128 v12, v[4:7] offset:33120
	ds_load_b128 v[0:3], v26
	ds_load_b128 v[4:7], v12 offset:31680
	s_wait_dscnt 0x0
	v_add_f64_e64 v[10:11], v[0:1], -v[4:5]
	v_add_f64_e32 v[22:23], v[2:3], v[6:7]
	v_add_f64_e64 v[2:3], v[2:3], -v[6:7]
	v_add_f64_e32 v[0:1], v[0:1], v[4:5]
	s_delay_alu instid0(VALU_DEP_4) | instskip(NEXT) | instid1(VALU_DEP_4)
	v_mul_f64_e32 v[6:7], 0.5, v[10:11]
	v_mul_f64_e32 v[10:11], 0.5, v[22:23]
	s_delay_alu instid0(VALU_DEP_4) | instskip(SKIP_1) | instid1(VALU_DEP_3)
	v_mul_f64_e32 v[2:3], 0.5, v[2:3]
	s_wait_loadcnt 0x1
	v_mul_f64_e32 v[4:5], v[6:7], v[16:17]
	s_delay_alu instid0(VALU_DEP_2) | instskip(SKIP_1) | instid1(VALU_DEP_3)
	v_fma_f64 v[22:23], v[10:11], v[16:17], v[2:3]
	v_fma_f64 v[2:3], v[10:11], v[16:17], -v[2:3]
	v_fma_f64 v[24:25], v[0:1], 0.5, v[4:5]
	v_fma_f64 v[0:1], v[0:1], 0.5, -v[4:5]
	s_delay_alu instid0(VALU_DEP_4) | instskip(NEXT) | instid1(VALU_DEP_4)
	v_fma_f64 v[4:5], -v[14:15], v[6:7], v[22:23]
	v_fma_f64 v[16:17], -v[14:15], v[6:7], v[2:3]
	s_delay_alu instid0(VALU_DEP_4) | instskip(NEXT) | instid1(VALU_DEP_4)
	v_fma_f64 v[2:3], v[10:11], v[14:15], v[24:25]
	v_fma_f64 v[14:15], -v[10:11], v[14:15], v[0:1]
	v_lshlrev_b64_e32 v[0:1], 4, v[8:9]
	s_wait_alu 0xfffe
	s_delay_alu instid0(VALU_DEP_1) | instskip(SKIP_1) | instid1(VALU_DEP_2)
	v_add_co_u32 v10, s0, s0, v0
	s_wait_alu 0xf1ff
	v_add_co_ci_u32_e64 v11, s0, s1, v1, s0
	global_load_b128 v[6:9], v[10:11], off offset:14400
	ds_store_b128 v26, v[2:5]
	ds_store_b128 v12, v[14:17] offset:31680
	ds_load_b128 v[2:5], v28
	ds_load_b128 v[13:16], v12 offset:30240
	s_wait_dscnt 0x0
	v_add_f64_e64 v[22:23], v[2:3], -v[13:14]
	v_add_f64_e32 v[24:25], v[4:5], v[15:16]
	v_add_f64_e64 v[4:5], v[4:5], -v[15:16]
	v_add_f64_e32 v[2:3], v[2:3], v[13:14]
	s_delay_alu instid0(VALU_DEP_4) | instskip(NEXT) | instid1(VALU_DEP_4)
	v_mul_f64_e32 v[15:16], 0.5, v[22:23]
	v_mul_f64_e32 v[22:23], 0.5, v[24:25]
	s_delay_alu instid0(VALU_DEP_4) | instskip(SKIP_1) | instid1(VALU_DEP_3)
	v_mul_f64_e32 v[4:5], 0.5, v[4:5]
	s_wait_loadcnt 0x1
	v_mul_f64_e32 v[13:14], v[15:16], v[20:21]
	s_delay_alu instid0(VALU_DEP_2) | instskip(SKIP_1) | instid1(VALU_DEP_3)
	v_fma_f64 v[24:25], v[22:23], v[20:21], v[4:5]
	v_fma_f64 v[20:21], v[22:23], v[20:21], -v[4:5]
	v_fma_f64 v[26:27], v[2:3], 0.5, v[13:14]
	v_fma_f64 v[13:14], v[2:3], 0.5, -v[13:14]
	s_delay_alu instid0(VALU_DEP_4) | instskip(NEXT) | instid1(VALU_DEP_4)
	v_fma_f64 v[4:5], -v[18:19], v[15:16], v[24:25]
	v_fma_f64 v[15:16], -v[18:19], v[15:16], v[20:21]
	s_delay_alu instid0(VALU_DEP_4) | instskip(NEXT) | instid1(VALU_DEP_4)
	v_fma_f64 v[2:3], v[22:23], v[18:19], v[26:27]
	v_fma_f64 v[13:14], -v[22:23], v[18:19], v[13:14]
	global_load_b128 v[17:20], v[10:11], off offset:15840
	ds_store_b128 v28, v[2:5]
	ds_store_b128 v12, v[13:16] offset:30240
	ds_load_b128 v[2:5], v196 offset:14400
	ds_load_b128 v[13:16], v12 offset:28800
	s_wait_dscnt 0x0
	v_add_f64_e64 v[21:22], v[2:3], -v[13:14]
	v_add_f64_e32 v[23:24], v[4:5], v[15:16]
	v_add_f64_e64 v[4:5], v[4:5], -v[15:16]
	v_add_f64_e32 v[2:3], v[2:3], v[13:14]
	s_delay_alu instid0(VALU_DEP_4) | instskip(NEXT) | instid1(VALU_DEP_4)
	v_mul_f64_e32 v[15:16], 0.5, v[21:22]
	v_mul_f64_e32 v[21:22], 0.5, v[23:24]
	s_delay_alu instid0(VALU_DEP_4) | instskip(SKIP_1) | instid1(VALU_DEP_3)
	v_mul_f64_e32 v[4:5], 0.5, v[4:5]
	s_wait_loadcnt 0x1
	v_mul_f64_e32 v[13:14], v[15:16], v[8:9]
	s_delay_alu instid0(VALU_DEP_2) | instskip(SKIP_1) | instid1(VALU_DEP_3)
	v_fma_f64 v[23:24], v[21:22], v[8:9], v[4:5]
	v_fma_f64 v[8:9], v[21:22], v[8:9], -v[4:5]
	v_fma_f64 v[25:26], v[2:3], 0.5, v[13:14]
	v_fma_f64 v[13:14], v[2:3], 0.5, -v[13:14]
	s_delay_alu instid0(VALU_DEP_4) | instskip(NEXT) | instid1(VALU_DEP_4)
	v_fma_f64 v[4:5], -v[6:7], v[15:16], v[23:24]
	v_fma_f64 v[8:9], -v[6:7], v[15:16], v[8:9]
	s_delay_alu instid0(VALU_DEP_4) | instskip(NEXT) | instid1(VALU_DEP_4)
	v_fma_f64 v[2:3], v[21:22], v[6:7], v[25:26]
	v_fma_f64 v[6:7], -v[21:22], v[6:7], v[13:14]
	global_load_b128 v[13:16], v[10:11], off offset:17280
	ds_store_b128 v196, v[2:5] offset:14400
	ds_store_b128 v12, v[6:9] offset:28800
	ds_load_b128 v[2:5], v196 offset:15840
	ds_load_b128 v[6:9], v12 offset:27360
	s_wait_dscnt 0x0
	v_add_f64_e64 v[21:22], v[2:3], -v[6:7]
	v_add_f64_e32 v[23:24], v[4:5], v[8:9]
	v_add_f64_e64 v[4:5], v[4:5], -v[8:9]
	v_add_f64_e32 v[2:3], v[2:3], v[6:7]
	s_delay_alu instid0(VALU_DEP_4) | instskip(NEXT) | instid1(VALU_DEP_4)
	v_mul_f64_e32 v[8:9], 0.5, v[21:22]
	v_mul_f64_e32 v[21:22], 0.5, v[23:24]
	s_delay_alu instid0(VALU_DEP_4) | instskip(SKIP_1) | instid1(VALU_DEP_3)
	v_mul_f64_e32 v[4:5], 0.5, v[4:5]
	s_wait_loadcnt 0x1
	v_mul_f64_e32 v[6:7], v[8:9], v[19:20]
	s_delay_alu instid0(VALU_DEP_2) | instskip(SKIP_1) | instid1(VALU_DEP_3)
	v_fma_f64 v[23:24], v[21:22], v[19:20], v[4:5]
	v_fma_f64 v[19:20], v[21:22], v[19:20], -v[4:5]
	v_fma_f64 v[25:26], v[2:3], 0.5, v[6:7]
	v_fma_f64 v[6:7], v[2:3], 0.5, -v[6:7]
	s_delay_alu instid0(VALU_DEP_4) | instskip(NEXT) | instid1(VALU_DEP_4)
	v_fma_f64 v[4:5], -v[17:18], v[8:9], v[23:24]
	v_fma_f64 v[8:9], -v[17:18], v[8:9], v[19:20]
	s_delay_alu instid0(VALU_DEP_4) | instskip(NEXT) | instid1(VALU_DEP_4)
	v_fma_f64 v[2:3], v[21:22], v[17:18], v[25:26]
	v_fma_f64 v[6:7], -v[21:22], v[17:18], v[6:7]
	global_load_b128 v[17:20], v[10:11], off offset:18720
	ds_store_b128 v196, v[2:5] offset:15840
	ds_store_b128 v12, v[6:9] offset:27360
	ds_load_b128 v[2:5], v196 offset:17280
	ds_load_b128 v[6:9], v12 offset:25920
	s_wait_dscnt 0x0
	v_add_f64_e64 v[21:22], v[2:3], -v[6:7]
	v_add_f64_e32 v[23:24], v[4:5], v[8:9]
	v_add_f64_e64 v[4:5], v[4:5], -v[8:9]
	v_add_f64_e32 v[2:3], v[2:3], v[6:7]
	s_delay_alu instid0(VALU_DEP_4) | instskip(NEXT) | instid1(VALU_DEP_4)
	v_mul_f64_e32 v[8:9], 0.5, v[21:22]
	v_mul_f64_e32 v[21:22], 0.5, v[23:24]
	s_delay_alu instid0(VALU_DEP_4) | instskip(SKIP_1) | instid1(VALU_DEP_3)
	v_mul_f64_e32 v[4:5], 0.5, v[4:5]
	s_wait_loadcnt 0x1
	v_mul_f64_e32 v[6:7], v[8:9], v[15:16]
	s_delay_alu instid0(VALU_DEP_2) | instskip(SKIP_1) | instid1(VALU_DEP_3)
	v_fma_f64 v[23:24], v[21:22], v[15:16], v[4:5]
	v_fma_f64 v[15:16], v[21:22], v[15:16], -v[4:5]
	v_fma_f64 v[25:26], v[2:3], 0.5, v[6:7]
	v_fma_f64 v[6:7], v[2:3], 0.5, -v[6:7]
	s_delay_alu instid0(VALU_DEP_4) | instskip(NEXT) | instid1(VALU_DEP_4)
	v_fma_f64 v[4:5], -v[13:14], v[8:9], v[23:24]
	v_fma_f64 v[8:9], -v[13:14], v[8:9], v[15:16]
	s_delay_alu instid0(VALU_DEP_4) | instskip(NEXT) | instid1(VALU_DEP_4)
	v_fma_f64 v[2:3], v[21:22], v[13:14], v[25:26]
	v_fma_f64 v[6:7], -v[21:22], v[13:14], v[6:7]
	global_load_b128 v[13:16], v[10:11], off offset:20160
	ds_store_b128 v196, v[2:5] offset:17280
	ds_store_b128 v12, v[6:9] offset:25920
	ds_load_b128 v[2:5], v196 offset:18720
	ds_load_b128 v[6:9], v12 offset:24480
	s_wait_dscnt 0x0
	v_add_f64_e64 v[10:11], v[2:3], -v[6:7]
	v_add_f64_e32 v[21:22], v[4:5], v[8:9]
	v_add_f64_e64 v[4:5], v[4:5], -v[8:9]
	v_add_f64_e32 v[2:3], v[2:3], v[6:7]
	s_delay_alu instid0(VALU_DEP_4) | instskip(NEXT) | instid1(VALU_DEP_4)
	v_mul_f64_e32 v[8:9], 0.5, v[10:11]
	v_mul_f64_e32 v[10:11], 0.5, v[21:22]
	s_delay_alu instid0(VALU_DEP_4) | instskip(SKIP_1) | instid1(VALU_DEP_3)
	v_mul_f64_e32 v[4:5], 0.5, v[4:5]
	s_wait_loadcnt 0x1
	v_mul_f64_e32 v[6:7], v[8:9], v[19:20]
	s_delay_alu instid0(VALU_DEP_2) | instskip(SKIP_1) | instid1(VALU_DEP_3)
	v_fma_f64 v[21:22], v[10:11], v[19:20], v[4:5]
	v_fma_f64 v[19:20], v[10:11], v[19:20], -v[4:5]
	v_fma_f64 v[23:24], v[2:3], 0.5, v[6:7]
	v_fma_f64 v[6:7], v[2:3], 0.5, -v[6:7]
	s_delay_alu instid0(VALU_DEP_4) | instskip(NEXT) | instid1(VALU_DEP_4)
	v_fma_f64 v[4:5], -v[17:18], v[8:9], v[21:22]
	v_fma_f64 v[8:9], -v[17:18], v[8:9], v[19:20]
	s_delay_alu instid0(VALU_DEP_4) | instskip(NEXT) | instid1(VALU_DEP_4)
	v_fma_f64 v[2:3], v[10:11], v[17:18], v[23:24]
	v_fma_f64 v[6:7], -v[10:11], v[17:18], v[6:7]
	ds_store_b128 v196, v[2:5] offset:18720
	ds_store_b128 v12, v[6:9] offset:24480
	ds_load_b128 v[2:5], v196 offset:20160
	ds_load_b128 v[6:9], v12 offset:23040
	s_wait_dscnt 0x0
	v_add_f64_e64 v[10:11], v[2:3], -v[6:7]
	v_add_f64_e32 v[17:18], v[4:5], v[8:9]
	v_add_f64_e64 v[4:5], v[4:5], -v[8:9]
	v_add_f64_e32 v[2:3], v[2:3], v[6:7]
	s_delay_alu instid0(VALU_DEP_4) | instskip(NEXT) | instid1(VALU_DEP_4)
	v_mul_f64_e32 v[8:9], 0.5, v[10:11]
	v_mul_f64_e32 v[10:11], 0.5, v[17:18]
	s_delay_alu instid0(VALU_DEP_4) | instskip(SKIP_1) | instid1(VALU_DEP_3)
	v_mul_f64_e32 v[4:5], 0.5, v[4:5]
	s_wait_loadcnt 0x0
	v_mul_f64_e32 v[6:7], v[8:9], v[15:16]
	s_delay_alu instid0(VALU_DEP_2) | instskip(SKIP_1) | instid1(VALU_DEP_3)
	v_fma_f64 v[17:18], v[10:11], v[15:16], v[4:5]
	v_fma_f64 v[15:16], v[10:11], v[15:16], -v[4:5]
	v_fma_f64 v[19:20], v[2:3], 0.5, v[6:7]
	v_fma_f64 v[6:7], v[2:3], 0.5, -v[6:7]
	s_delay_alu instid0(VALU_DEP_4) | instskip(NEXT) | instid1(VALU_DEP_4)
	v_fma_f64 v[4:5], -v[13:14], v[8:9], v[17:18]
	v_fma_f64 v[8:9], -v[13:14], v[8:9], v[15:16]
	s_delay_alu instid0(VALU_DEP_4) | instskip(NEXT) | instid1(VALU_DEP_4)
	v_fma_f64 v[2:3], v[10:11], v[13:14], v[19:20]
	v_fma_f64 v[6:7], -v[10:11], v[13:14], v[6:7]
	ds_store_b128 v196, v[2:5] offset:20160
	ds_store_b128 v12, v[6:9] offset:23040
	global_wb scope:SCOPE_SE
	s_wait_dscnt 0x0
	s_barrier_signal -1
	s_barrier_wait -1
	global_inv scope:SCOPE_SE
	s_and_saveexec_b32 s0, vcc_lo
	s_cbranch_execz .LBB0_20
; %bb.18:
	ds_load_b128 v[4:7], v196
	ds_load_b128 v[8:11], v196 offset:1440
	ds_load_b128 v[12:15], v196 offset:2880
	;; [unrolled: 1-line block ×7, first 2 shown]
	v_add_co_u32 v2, vcc_lo, s8, v114
	s_wait_alu 0xfffd
	v_add_co_ci_u32_e32 v3, vcc_lo, s9, v115, vcc_lo
	ds_load_b128 v[36:39], v196 offset:41760
	v_add_co_u32 v0, vcc_lo, v2, v0
	s_wait_alu 0xfffd
	v_add_co_ci_u32_e32 v1, vcc_lo, v3, v1, vcc_lo
	v_cmp_eq_u32_e32 vcc_lo, 0x59, v112
	s_wait_dscnt 0x8
	global_store_b128 v[0:1], v[4:7], off
	s_wait_dscnt 0x7
	global_store_b128 v[0:1], v[8:11], off offset:1440
	s_wait_dscnt 0x6
	global_store_b128 v[0:1], v[12:15], off offset:2880
	;; [unrolled: 2-line block ×5, first 2 shown]
	ds_load_b128 v[4:7], v196 offset:11520
	ds_load_b128 v[8:11], v196 offset:12960
	s_wait_dscnt 0x4
	global_store_b128 v[0:1], v[28:31], off offset:8640
	s_wait_dscnt 0x3
	global_store_b128 v[0:1], v[32:35], off offset:10080
	ds_load_b128 v[12:15], v196 offset:14400
	ds_load_b128 v[16:19], v196 offset:15840
	;; [unrolled: 1-line block ×16, first 2 shown]
	s_wait_dscnt 0x11
	global_store_b128 v[0:1], v[4:7], off offset:11520
	s_wait_dscnt 0x10
	global_store_b128 v[0:1], v[8:11], off offset:12960
	ds_load_b128 v[4:7], v196 offset:37440
	ds_load_b128 v[8:11], v196 offset:38880
	;; [unrolled: 1-line block ×3, first 2 shown]
	s_wait_dscnt 0x12
	global_store_b128 v[0:1], v[12:15], off offset:14400
	s_wait_dscnt 0x11
	global_store_b128 v[0:1], v[16:19], off offset:15840
	;; [unrolled: 2-line block ×18, first 2 shown]
	s_wait_dscnt 0x0
	s_clause 0x1
	global_store_b128 v[0:1], v[80:83], off offset:40320
	global_store_b128 v[0:1], v[36:39], off offset:41760
	s_and_b32 exec_lo, exec_lo, vcc_lo
	s_cbranch_execz .LBB0_20
; %bb.19:
	v_mov_b32_e32 v0, 0
	ds_load_b128 v[4:7], v0 offset:43200
	s_wait_dscnt 0x0
	global_store_b128 v[2:3], v[4:7], off offset:43200
.LBB0_20:
	s_nop 0
	s_sendmsg sendmsg(MSG_DEALLOC_VGPRS)
	s_endpgm
	.section	.rodata,"a",@progbits
	.p2align	6, 0x0
	.amdhsa_kernel fft_rtc_fwd_len2700_factors_3_10_10_3_3_wgs_90_tpt_90_halfLds_dp_ip_CI_unitstride_sbrr_R2C_dirReg
		.amdhsa_group_segment_fixed_size 0
		.amdhsa_private_segment_fixed_size 0
		.amdhsa_kernarg_size 88
		.amdhsa_user_sgpr_count 2
		.amdhsa_user_sgpr_dispatch_ptr 0
		.amdhsa_user_sgpr_queue_ptr 0
		.amdhsa_user_sgpr_kernarg_segment_ptr 1
		.amdhsa_user_sgpr_dispatch_id 0
		.amdhsa_user_sgpr_private_segment_size 0
		.amdhsa_wavefront_size32 1
		.amdhsa_uses_dynamic_stack 0
		.amdhsa_enable_private_segment 0
		.amdhsa_system_sgpr_workgroup_id_x 1
		.amdhsa_system_sgpr_workgroup_id_y 0
		.amdhsa_system_sgpr_workgroup_id_z 0
		.amdhsa_system_sgpr_workgroup_info 0
		.amdhsa_system_vgpr_workitem_id 0
		.amdhsa_next_free_vgpr 248
		.amdhsa_next_free_sgpr 32
		.amdhsa_reserve_vcc 1
		.amdhsa_float_round_mode_32 0
		.amdhsa_float_round_mode_16_64 0
		.amdhsa_float_denorm_mode_32 3
		.amdhsa_float_denorm_mode_16_64 3
		.amdhsa_fp16_overflow 0
		.amdhsa_workgroup_processor_mode 1
		.amdhsa_memory_ordered 1
		.amdhsa_forward_progress 0
		.amdhsa_round_robin_scheduling 0
		.amdhsa_exception_fp_ieee_invalid_op 0
		.amdhsa_exception_fp_denorm_src 0
		.amdhsa_exception_fp_ieee_div_zero 0
		.amdhsa_exception_fp_ieee_overflow 0
		.amdhsa_exception_fp_ieee_underflow 0
		.amdhsa_exception_fp_ieee_inexact 0
		.amdhsa_exception_int_div_zero 0
	.end_amdhsa_kernel
	.text
.Lfunc_end0:
	.size	fft_rtc_fwd_len2700_factors_3_10_10_3_3_wgs_90_tpt_90_halfLds_dp_ip_CI_unitstride_sbrr_R2C_dirReg, .Lfunc_end0-fft_rtc_fwd_len2700_factors_3_10_10_3_3_wgs_90_tpt_90_halfLds_dp_ip_CI_unitstride_sbrr_R2C_dirReg
                                        ; -- End function
	.section	.AMDGPU.csdata,"",@progbits
; Kernel info:
; codeLenInByte = 23140
; NumSgprs: 34
; NumVgprs: 248
; ScratchSize: 0
; MemoryBound: 0
; FloatMode: 240
; IeeeMode: 1
; LDSByteSize: 0 bytes/workgroup (compile time only)
; SGPRBlocks: 4
; VGPRBlocks: 30
; NumSGPRsForWavesPerEU: 34
; NumVGPRsForWavesPerEU: 248
; Occupancy: 5
; WaveLimiterHint : 1
; COMPUTE_PGM_RSRC2:SCRATCH_EN: 0
; COMPUTE_PGM_RSRC2:USER_SGPR: 2
; COMPUTE_PGM_RSRC2:TRAP_HANDLER: 0
; COMPUTE_PGM_RSRC2:TGID_X_EN: 1
; COMPUTE_PGM_RSRC2:TGID_Y_EN: 0
; COMPUTE_PGM_RSRC2:TGID_Z_EN: 0
; COMPUTE_PGM_RSRC2:TIDIG_COMP_CNT: 0
	.text
	.p2alignl 7, 3214868480
	.fill 96, 4, 3214868480
	.type	__hip_cuid_c708687f29be8b6a,@object ; @__hip_cuid_c708687f29be8b6a
	.section	.bss,"aw",@nobits
	.globl	__hip_cuid_c708687f29be8b6a
__hip_cuid_c708687f29be8b6a:
	.byte	0                               ; 0x0
	.size	__hip_cuid_c708687f29be8b6a, 1

	.ident	"AMD clang version 19.0.0git (https://github.com/RadeonOpenCompute/llvm-project roc-6.4.0 25133 c7fe45cf4b819c5991fe208aaa96edf142730f1d)"
	.section	".note.GNU-stack","",@progbits
	.addrsig
	.addrsig_sym __hip_cuid_c708687f29be8b6a
	.amdgpu_metadata
---
amdhsa.kernels:
  - .args:
      - .actual_access:  read_only
        .address_space:  global
        .offset:         0
        .size:           8
        .value_kind:     global_buffer
      - .offset:         8
        .size:           8
        .value_kind:     by_value
      - .actual_access:  read_only
        .address_space:  global
        .offset:         16
        .size:           8
        .value_kind:     global_buffer
      - .actual_access:  read_only
        .address_space:  global
        .offset:         24
        .size:           8
        .value_kind:     global_buffer
      - .offset:         32
        .size:           8
        .value_kind:     by_value
      - .actual_access:  read_only
        .address_space:  global
        .offset:         40
        .size:           8
        .value_kind:     global_buffer
      - .actual_access:  read_only
        .address_space:  global
        .offset:         48
        .size:           8
        .value_kind:     global_buffer
      - .offset:         56
        .size:           4
        .value_kind:     by_value
      - .actual_access:  read_only
        .address_space:  global
        .offset:         64
        .size:           8
        .value_kind:     global_buffer
      - .actual_access:  read_only
        .address_space:  global
        .offset:         72
        .size:           8
        .value_kind:     global_buffer
      - .address_space:  global
        .offset:         80
        .size:           8
        .value_kind:     global_buffer
    .group_segment_fixed_size: 0
    .kernarg_segment_align: 8
    .kernarg_segment_size: 88
    .language:       OpenCL C
    .language_version:
      - 2
      - 0
    .max_flat_workgroup_size: 90
    .name:           fft_rtc_fwd_len2700_factors_3_10_10_3_3_wgs_90_tpt_90_halfLds_dp_ip_CI_unitstride_sbrr_R2C_dirReg
    .private_segment_fixed_size: 0
    .sgpr_count:     34
    .sgpr_spill_count: 0
    .symbol:         fft_rtc_fwd_len2700_factors_3_10_10_3_3_wgs_90_tpt_90_halfLds_dp_ip_CI_unitstride_sbrr_R2C_dirReg.kd
    .uniform_work_group_size: 1
    .uses_dynamic_stack: false
    .vgpr_count:     248
    .vgpr_spill_count: 0
    .wavefront_size: 32
    .workgroup_processor_mode: 1
amdhsa.target:   amdgcn-amd-amdhsa--gfx1201
amdhsa.version:
  - 1
  - 2
...

	.end_amdgpu_metadata
